;; amdgpu-corpus repo=ROCm/rocFFT kind=compiled arch=gfx1201 opt=O3
	.text
	.amdgcn_target "amdgcn-amd-amdhsa--gfx1201"
	.amdhsa_code_object_version 6
	.protected	fft_rtc_back_len182_factors_13_2_7_wgs_52_tpt_13_half_ip_CI_unitstride_sbrr_R2C_dirReg ; -- Begin function fft_rtc_back_len182_factors_13_2_7_wgs_52_tpt_13_half_ip_CI_unitstride_sbrr_R2C_dirReg
	.globl	fft_rtc_back_len182_factors_13_2_7_wgs_52_tpt_13_half_ip_CI_unitstride_sbrr_R2C_dirReg
	.p2align	8
	.type	fft_rtc_back_len182_factors_13_2_7_wgs_52_tpt_13_half_ip_CI_unitstride_sbrr_R2C_dirReg,@function
fft_rtc_back_len182_factors_13_2_7_wgs_52_tpt_13_half_ip_CI_unitstride_sbrr_R2C_dirReg: ; @fft_rtc_back_len182_factors_13_2_7_wgs_52_tpt_13_half_ip_CI_unitstride_sbrr_R2C_dirReg
; %bb.0:
	s_clause 0x2
	s_load_b128 s[4:7], s[0:1], 0x0
	s_load_b64 s[8:9], s[0:1], 0x50
	s_load_b64 s[10:11], s[0:1], 0x18
	v_mul_u32_u24_e32 v1, 0x13b2, v0
	v_mov_b32_e32 v3, 0
	s_delay_alu instid0(VALU_DEP_2) | instskip(SKIP_2) | instid1(VALU_DEP_4)
	v_lshrrev_b32_e32 v9, 16, v1
	v_mov_b32_e32 v1, 0
	v_mov_b32_e32 v2, 0
	;; [unrolled: 1-line block ×3, first 2 shown]
	s_delay_alu instid0(VALU_DEP_4) | instskip(SKIP_2) | instid1(VALU_DEP_1)
	v_lshl_add_u32 v5, ttmp9, 2, v9
	s_wait_kmcnt 0x0
	v_cmp_lt_u64_e64 s2, s[6:7], 2
	s_and_b32 vcc_lo, exec_lo, s2
	s_cbranch_vccnz .LBB0_8
; %bb.1:
	s_load_b64 s[2:3], s[0:1], 0x10
	v_mov_b32_e32 v1, 0
	v_mov_b32_e32 v2, 0
	s_add_nc_u64 s[12:13], s[10:11], 8
	s_mov_b64 s[14:15], 1
	s_wait_kmcnt 0x0
	s_add_nc_u64 s[16:17], s[2:3], 8
	s_mov_b32 s3, 0
.LBB0_2:                                ; =>This Inner Loop Header: Depth=1
	s_load_b64 s[18:19], s[16:17], 0x0
                                        ; implicit-def: $vgpr7_vgpr8
	s_mov_b32 s2, exec_lo
	s_wait_kmcnt 0x0
	v_or_b32_e32 v4, s19, v6
	s_delay_alu instid0(VALU_DEP_1)
	v_cmpx_ne_u64_e32 0, v[3:4]
	s_wait_alu 0xfffe
	s_xor_b32 s20, exec_lo, s2
	s_cbranch_execz .LBB0_4
; %bb.3:                                ;   in Loop: Header=BB0_2 Depth=1
	s_cvt_f32_u32 s2, s18
	s_cvt_f32_u32 s21, s19
	s_sub_nc_u64 s[24:25], 0, s[18:19]
	s_wait_alu 0xfffe
	s_delay_alu instid0(SALU_CYCLE_1) | instskip(SKIP_1) | instid1(SALU_CYCLE_2)
	s_fmamk_f32 s2, s21, 0x4f800000, s2
	s_wait_alu 0xfffe
	v_s_rcp_f32 s2, s2
	s_delay_alu instid0(TRANS32_DEP_1) | instskip(SKIP_1) | instid1(SALU_CYCLE_2)
	s_mul_f32 s2, s2, 0x5f7ffffc
	s_wait_alu 0xfffe
	s_mul_f32 s21, s2, 0x2f800000
	s_wait_alu 0xfffe
	s_delay_alu instid0(SALU_CYCLE_2) | instskip(SKIP_1) | instid1(SALU_CYCLE_2)
	s_trunc_f32 s21, s21
	s_wait_alu 0xfffe
	s_fmamk_f32 s2, s21, 0xcf800000, s2
	s_cvt_u32_f32 s23, s21
	s_wait_alu 0xfffe
	s_delay_alu instid0(SALU_CYCLE_1) | instskip(SKIP_1) | instid1(SALU_CYCLE_2)
	s_cvt_u32_f32 s22, s2
	s_wait_alu 0xfffe
	s_mul_u64 s[26:27], s[24:25], s[22:23]
	s_wait_alu 0xfffe
	s_mul_hi_u32 s29, s22, s27
	s_mul_i32 s28, s22, s27
	s_mul_hi_u32 s2, s22, s26
	s_mul_i32 s30, s23, s26
	s_wait_alu 0xfffe
	s_add_nc_u64 s[28:29], s[2:3], s[28:29]
	s_mul_hi_u32 s21, s23, s26
	s_mul_hi_u32 s31, s23, s27
	s_add_co_u32 s2, s28, s30
	s_wait_alu 0xfffe
	s_add_co_ci_u32 s2, s29, s21
	s_mul_i32 s26, s23, s27
	s_add_co_ci_u32 s27, s31, 0
	s_wait_alu 0xfffe
	s_add_nc_u64 s[26:27], s[2:3], s[26:27]
	s_wait_alu 0xfffe
	v_add_co_u32 v4, s2, s22, s26
	s_delay_alu instid0(VALU_DEP_1) | instskip(SKIP_1) | instid1(VALU_DEP_1)
	s_cmp_lg_u32 s2, 0
	s_add_co_ci_u32 s23, s23, s27
	v_readfirstlane_b32 s22, v4
	s_wait_alu 0xfffe
	s_delay_alu instid0(VALU_DEP_1)
	s_mul_u64 s[24:25], s[24:25], s[22:23]
	s_wait_alu 0xfffe
	s_mul_hi_u32 s27, s22, s25
	s_mul_i32 s26, s22, s25
	s_mul_hi_u32 s2, s22, s24
	s_mul_i32 s28, s23, s24
	s_wait_alu 0xfffe
	s_add_nc_u64 s[26:27], s[2:3], s[26:27]
	s_mul_hi_u32 s21, s23, s24
	s_mul_hi_u32 s22, s23, s25
	s_wait_alu 0xfffe
	s_add_co_u32 s2, s26, s28
	s_add_co_ci_u32 s2, s27, s21
	s_mul_i32 s24, s23, s25
	s_add_co_ci_u32 s25, s22, 0
	s_wait_alu 0xfffe
	s_add_nc_u64 s[24:25], s[2:3], s[24:25]
	s_wait_alu 0xfffe
	v_add_co_u32 v4, s2, v4, s24
	s_delay_alu instid0(VALU_DEP_1) | instskip(SKIP_1) | instid1(VALU_DEP_1)
	s_cmp_lg_u32 s2, 0
	s_add_co_ci_u32 s2, s23, s25
	v_mul_hi_u32 v14, v5, v4
	s_wait_alu 0xfffe
	v_mad_co_u64_u32 v[7:8], null, v5, s2, 0
	v_mad_co_u64_u32 v[10:11], null, v6, v4, 0
	;; [unrolled: 1-line block ×3, first 2 shown]
	s_delay_alu instid0(VALU_DEP_3) | instskip(SKIP_1) | instid1(VALU_DEP_4)
	v_add_co_u32 v4, vcc_lo, v14, v7
	s_wait_alu 0xfffd
	v_add_co_ci_u32_e32 v7, vcc_lo, 0, v8, vcc_lo
	s_delay_alu instid0(VALU_DEP_2) | instskip(SKIP_1) | instid1(VALU_DEP_2)
	v_add_co_u32 v4, vcc_lo, v4, v10
	s_wait_alu 0xfffd
	v_add_co_ci_u32_e32 v4, vcc_lo, v7, v11, vcc_lo
	s_wait_alu 0xfffd
	v_add_co_ci_u32_e32 v7, vcc_lo, 0, v13, vcc_lo
	s_delay_alu instid0(VALU_DEP_2) | instskip(SKIP_1) | instid1(VALU_DEP_2)
	v_add_co_u32 v4, vcc_lo, v4, v12
	s_wait_alu 0xfffd
	v_add_co_ci_u32_e32 v10, vcc_lo, 0, v7, vcc_lo
	s_delay_alu instid0(VALU_DEP_2) | instskip(SKIP_1) | instid1(VALU_DEP_3)
	v_mul_lo_u32 v11, s19, v4
	v_mad_co_u64_u32 v[7:8], null, s18, v4, 0
	v_mul_lo_u32 v12, s18, v10
	s_delay_alu instid0(VALU_DEP_2) | instskip(NEXT) | instid1(VALU_DEP_2)
	v_sub_co_u32 v7, vcc_lo, v5, v7
	v_add3_u32 v8, v8, v12, v11
	s_delay_alu instid0(VALU_DEP_1) | instskip(SKIP_1) | instid1(VALU_DEP_1)
	v_sub_nc_u32_e32 v11, v6, v8
	s_wait_alu 0xfffd
	v_subrev_co_ci_u32_e64 v11, s2, s19, v11, vcc_lo
	v_add_co_u32 v12, s2, v4, 2
	s_wait_alu 0xf1ff
	v_add_co_ci_u32_e64 v13, s2, 0, v10, s2
	v_sub_co_u32 v14, s2, v7, s18
	v_sub_co_ci_u32_e32 v8, vcc_lo, v6, v8, vcc_lo
	s_wait_alu 0xf1ff
	v_subrev_co_ci_u32_e64 v11, s2, 0, v11, s2
	s_delay_alu instid0(VALU_DEP_3) | instskip(NEXT) | instid1(VALU_DEP_3)
	v_cmp_le_u32_e32 vcc_lo, s18, v14
	v_cmp_eq_u32_e64 s2, s19, v8
	s_wait_alu 0xfffd
	v_cndmask_b32_e64 v14, 0, -1, vcc_lo
	v_cmp_le_u32_e32 vcc_lo, s19, v11
	s_wait_alu 0xfffd
	v_cndmask_b32_e64 v15, 0, -1, vcc_lo
	v_cmp_le_u32_e32 vcc_lo, s18, v7
	;; [unrolled: 3-line block ×3, first 2 shown]
	s_wait_alu 0xfffd
	v_cndmask_b32_e64 v16, 0, -1, vcc_lo
	v_cmp_eq_u32_e32 vcc_lo, s19, v11
	s_wait_alu 0xf1ff
	s_delay_alu instid0(VALU_DEP_2)
	v_cndmask_b32_e64 v7, v16, v7, s2
	s_wait_alu 0xfffd
	v_cndmask_b32_e32 v11, v15, v14, vcc_lo
	v_add_co_u32 v14, vcc_lo, v4, 1
	s_wait_alu 0xfffd
	v_add_co_ci_u32_e32 v15, vcc_lo, 0, v10, vcc_lo
	s_delay_alu instid0(VALU_DEP_3) | instskip(SKIP_1) | instid1(VALU_DEP_2)
	v_cmp_ne_u32_e32 vcc_lo, 0, v11
	s_wait_alu 0xfffd
	v_dual_cndmask_b32 v8, v15, v13 :: v_dual_cndmask_b32 v11, v14, v12
	v_cmp_ne_u32_e32 vcc_lo, 0, v7
	s_wait_alu 0xfffd
	s_delay_alu instid0(VALU_DEP_2)
	v_dual_cndmask_b32 v8, v10, v8 :: v_dual_cndmask_b32 v7, v4, v11
.LBB0_4:                                ;   in Loop: Header=BB0_2 Depth=1
	s_wait_alu 0xfffe
	s_and_not1_saveexec_b32 s2, s20
	s_cbranch_execz .LBB0_6
; %bb.5:                                ;   in Loop: Header=BB0_2 Depth=1
	v_cvt_f32_u32_e32 v4, s18
	s_sub_co_i32 s20, 0, s18
	s_delay_alu instid0(VALU_DEP_1) | instskip(NEXT) | instid1(TRANS32_DEP_1)
	v_rcp_iflag_f32_e32 v4, v4
	v_mul_f32_e32 v4, 0x4f7ffffe, v4
	s_delay_alu instid0(VALU_DEP_1) | instskip(SKIP_1) | instid1(VALU_DEP_1)
	v_cvt_u32_f32_e32 v4, v4
	s_wait_alu 0xfffe
	v_mul_lo_u32 v7, s20, v4
	s_delay_alu instid0(VALU_DEP_1) | instskip(NEXT) | instid1(VALU_DEP_1)
	v_mul_hi_u32 v7, v4, v7
	v_add_nc_u32_e32 v4, v4, v7
	s_delay_alu instid0(VALU_DEP_1) | instskip(NEXT) | instid1(VALU_DEP_1)
	v_mul_hi_u32 v4, v5, v4
	v_mul_lo_u32 v7, v4, s18
	v_add_nc_u32_e32 v8, 1, v4
	s_delay_alu instid0(VALU_DEP_2) | instskip(NEXT) | instid1(VALU_DEP_1)
	v_sub_nc_u32_e32 v7, v5, v7
	v_subrev_nc_u32_e32 v10, s18, v7
	v_cmp_le_u32_e32 vcc_lo, s18, v7
	s_wait_alu 0xfffd
	s_delay_alu instid0(VALU_DEP_2) | instskip(NEXT) | instid1(VALU_DEP_1)
	v_dual_cndmask_b32 v7, v7, v10 :: v_dual_cndmask_b32 v4, v4, v8
	v_cmp_le_u32_e32 vcc_lo, s18, v7
	s_delay_alu instid0(VALU_DEP_2) | instskip(SKIP_1) | instid1(VALU_DEP_1)
	v_add_nc_u32_e32 v8, 1, v4
	s_wait_alu 0xfffd
	v_dual_cndmask_b32 v7, v4, v8 :: v_dual_mov_b32 v8, v3
.LBB0_6:                                ;   in Loop: Header=BB0_2 Depth=1
	s_wait_alu 0xfffe
	s_or_b32 exec_lo, exec_lo, s2
	s_load_b64 s[20:21], s[12:13], 0x0
	s_delay_alu instid0(VALU_DEP_1)
	v_mul_lo_u32 v4, v8, s18
	v_mul_lo_u32 v12, v7, s19
	v_mad_co_u64_u32 v[10:11], null, v7, s18, 0
	s_add_nc_u64 s[14:15], s[14:15], 1
	s_add_nc_u64 s[12:13], s[12:13], 8
	s_wait_alu 0xfffe
	v_cmp_ge_u64_e64 s2, s[14:15], s[6:7]
	s_add_nc_u64 s[16:17], s[16:17], 8
	s_delay_alu instid0(VALU_DEP_2) | instskip(NEXT) | instid1(VALU_DEP_3)
	v_add3_u32 v4, v11, v12, v4
	v_sub_co_u32 v5, vcc_lo, v5, v10
	s_wait_alu 0xfffd
	s_delay_alu instid0(VALU_DEP_2) | instskip(SKIP_3) | instid1(VALU_DEP_2)
	v_sub_co_ci_u32_e32 v4, vcc_lo, v6, v4, vcc_lo
	s_and_b32 vcc_lo, exec_lo, s2
	s_wait_kmcnt 0x0
	v_mul_lo_u32 v6, s21, v5
	v_mul_lo_u32 v4, s20, v4
	v_mad_co_u64_u32 v[1:2], null, s20, v5, v[1:2]
	s_delay_alu instid0(VALU_DEP_1)
	v_add3_u32 v2, v6, v2, v4
	s_wait_alu 0xfffe
	s_cbranch_vccnz .LBB0_9
; %bb.7:                                ;   in Loop: Header=BB0_2 Depth=1
	v_dual_mov_b32 v5, v7 :: v_dual_mov_b32 v6, v8
	s_branch .LBB0_2
.LBB0_8:
	v_dual_mov_b32 v8, v6 :: v_dual_mov_b32 v7, v5
.LBB0_9:
	s_lshl_b64 s[2:3], s[6:7], 3
	v_mul_hi_u32 v3, 0x13b13b14, v0
	s_wait_alu 0xfffe
	s_add_nc_u64 s[2:3], s[10:11], s[2:3]
	v_and_b32_e32 v6, 3, v9
	s_load_b64 s[2:3], s[2:3], 0x0
	s_load_b64 s[0:1], s[0:1], 0x20
	s_delay_alu instid0(VALU_DEP_2) | instskip(NEXT) | instid1(VALU_DEP_1)
	v_mul_u32_u24_e32 v3, 13, v3
	v_sub_nc_u32_e32 v0, v0, v3
	s_delay_alu instid0(VALU_DEP_1)
	v_lshlrev_b32_e32 v29, 2, v0
	s_wait_kmcnt 0x0
	v_mul_lo_u32 v4, s2, v8
	v_mul_lo_u32 v5, s3, v7
	v_mad_co_u64_u32 v[1:2], null, s2, v7, v[1:2]
	v_cmp_gt_u64_e32 vcc_lo, s[0:1], v[7:8]
	s_delay_alu instid0(VALU_DEP_2) | instskip(SKIP_1) | instid1(VALU_DEP_2)
	v_add3_u32 v2, v5, v2, v4
	v_mul_u32_u24_e32 v4, 0xb7, v6
	v_lshlrev_b64_e32 v[2:3], 2, v[1:2]
	s_delay_alu instid0(VALU_DEP_2)
	v_lshlrev_b32_e32 v32, 2, v4
	s_and_saveexec_b32 s1, vcc_lo
	s_cbranch_execz .LBB0_11
; %bb.10:
	v_mov_b32_e32 v1, 0
	s_delay_alu instid0(VALU_DEP_1) | instskip(SKIP_3) | instid1(VALU_DEP_2)
	v_lshlrev_b64_e32 v[4:5], 2, v[0:1]
	v_add_co_u32 v1, s0, s8, v2
	s_wait_alu 0xf1ff
	v_add_co_ci_u32_e64 v6, s0, s9, v3, s0
	v_add_co_u32 v4, s0, v1, v4
	s_wait_alu 0xf1ff
	s_delay_alu instid0(VALU_DEP_2)
	v_add_co_ci_u32_e64 v5, s0, v6, v5, s0
	s_clause 0xd
	global_load_b32 v1, v[4:5], off
	global_load_b32 v6, v[4:5], off offset:52
	global_load_b32 v7, v[4:5], off offset:104
	;; [unrolled: 1-line block ×13, first 2 shown]
	v_add3_u32 v5, 0, v32, v29
	s_wait_loadcnt 0xc
	ds_store_2addr_b32 v5, v1, v6 offset1:13
	s_wait_loadcnt 0xa
	ds_store_2addr_b32 v5, v7, v8 offset0:26 offset1:39
	s_wait_loadcnt 0x8
	ds_store_2addr_b32 v5, v9, v10 offset0:52 offset1:65
	;; [unrolled: 2-line block ×6, first 2 shown]
.LBB0_11:
	s_wait_alu 0xfffe
	s_or_b32 exec_lo, exec_lo, s1
	v_add_nc_u32_e32 v1, 0, v29
	v_add_nc_u32_e32 v30, 0, v32
	global_wb scope:SCOPE_SE
	s_wait_dscnt 0x0
	s_barrier_signal -1
	s_barrier_wait -1
	v_add_nc_u32_e32 v31, v1, v32
	v_add_nc_u32_e32 v28, v30, v29
	global_inv scope:SCOPE_SE
	v_mad_u32_u24 v33, v0, 52, v30
	s_mov_b32 s2, exec_lo
	ds_load_2addr_b32 v[20:21], v31 offset0:27 offset1:28
	ds_load_2addr_b32 v[18:19], v31 offset0:41 offset1:42
	;; [unrolled: 1-line block ×3, first 2 shown]
	ds_load_b32 v34, v28
	ds_load_2addr_b32 v[6:7], v31 offset0:167 offset1:168
	ds_load_2addr_b32 v[8:9], v31 offset0:153 offset1:154
	;; [unrolled: 1-line block ×9, first 2 shown]
	ds_load_b32 v1, v31 offset:724
	global_wb scope:SCOPE_SE
	s_wait_dscnt 0x0
	s_barrier_signal -1
	s_barrier_wait -1
	global_inv scope:SCOPE_SE
	v_pk_add_f16 v35, v34, v5
	v_pk_add_f16 v37, v7, v5
	;; [unrolled: 1-line block ×3, first 2 shown]
	v_pk_add_f16 v38, v21, v9 neg_lo:[0,1] neg_hi:[0,1]
	v_pk_add_f16 v5, v5, v7 neg_lo:[0,1] neg_hi:[0,1]
	v_pk_add_f16 v21, v35, v21
	v_lshrrev_b32_e32 v41, 16, v37
	v_lshrrev_b32_e32 v39, 16, v34
	v_pk_mul_f16 v42, 0xba95, v38 op_sel_hi:[0,1]
	v_pk_mul_f16 v35, 0xb770, v5 op_sel_hi:[0,1]
	v_pk_add_f16 v44, v21, v19
	v_lshrrev_b32_e32 v36, 16, v5
	v_mul_f16_e32 v46, 0x388b, v41
	v_mul_f16_e32 v48, 0x2fb7, v41
	v_pk_fma_f16 v21, 0x3b15, v37, v35 op_sel:[0,0,1] op_sel_hi:[0,1,0]
	v_pk_add_f16 v44, v44, v27
	v_pk_fma_f16 v35, 0x3b15, v37, v35 op_sel:[0,0,1] op_sel_hi:[0,1,0] neg_lo:[0,0,1] neg_hi:[0,0,1]
	v_mul_f16_e32 v49, 0xbb7b, v36
	v_mul_f16_e32 v50, 0xb5ac, v41
	;; [unrolled: 1-line block ×3, first 2 shown]
	v_pk_add_f16 v44, v44, v25
	v_mul_f16_e32 v41, 0xb9fd, v41
	v_lshrrev_b32_e32 v43, 16, v38
	v_mul_f16_e32 v45, 0xba95, v36
	v_mul_f16_e32 v47, 0xbbf1, v36
	v_pk_add_f16 v44, v44, v23
	v_pk_fma_f16 v36, 0x388b, v40, v42 op_sel:[0,0,1] op_sel_hi:[0,1,0]
	v_bfi_b32 v52, 0xffff, v21, v35
	v_fmamk_f16 v57, v37, 0xb5ac, v49
	v_fmamk_f16 v58, v5, 0x3b7b, v50
	v_pk_add_f16 v44, v44, v17
	v_fma_f16 v49, v37, 0xb5ac, -v49
	v_fmac_f16_e32 v50, 0xbb7b, v5
	v_fmamk_f16 v59, v37, 0xb9fd, v51
	v_fmamk_f16 v60, v5, 0x394e, v41
	v_pk_add_f16 v44, v44, v15
	v_fmamk_f16 v53, v37, 0x388b, v45
	v_fmamk_f16 v54, v5, 0x3a95, v46
	v_fmac_f16_e32 v46, 0xba95, v5
	v_fmamk_f16 v56, v5, 0x3bf1, v48
	v_pk_add_f16 v44, v44, v13
	v_fmac_f16_e32 v48, 0xbbf1, v5
	v_pk_add_f16 v52, v34, v52
	v_fmac_f16_e32 v41, 0xb94e, v5
	v_fma_f16 v45, v37, 0x388b, -v45
	v_pk_add_f16 v44, v44, v11
	v_fmamk_f16 v55, v37, 0x2fb7, v47
	v_add_f16_e32 v53, v34, v53
	v_add_f16_e32 v54, v39, v54
	;; [unrolled: 1-line block ×3, first 2 shown]
	v_pk_add_f16 v9, v44, v9
	v_add_f16_e32 v44, v34, v49
	v_add_f16_e32 v49, v39, v50
	;; [unrolled: 1-line block ×4, first 2 shown]
	v_pk_add_f16 v7, v9, v7
	v_pk_fma_f16 v9, 0x388b, v40, v42 op_sel:[0,0,1] op_sel_hi:[0,1,0] neg_lo:[0,0,1] neg_hi:[0,0,1]
	v_fma_f16 v42, v37, 0xb9fd, -v51
	v_mul_f16_e32 v51, 0xbb7b, v43
	v_lshrrev_b32_e32 v60, 16, v40
	v_add_f16_e32 v56, v39, v56
	v_bfi_b32 v61, 0xffff, v36, v9
	v_add_f16_e32 v48, v39, v48
	v_add_f16_e32 v58, v39, v58
	v_fmamk_f16 v62, v40, 0xb5ac, v51
	v_mul_f16_e32 v63, 0xb5ac, v60
	v_add_f16_e32 v39, v39, v41
	v_pk_add_f16 v41, v61, v52
	v_mul_f16_e32 v52, 0xb3a8, v43
	v_fma_f16 v47, v37, 0x2fb7, -v47
	v_add_f16_e32 v45, v34, v45
	v_add_f16_e32 v55, v34, v55
	;; [unrolled: 1-line block ×3, first 2 shown]
	v_fmamk_f16 v61, v38, 0x3b7b, v63
	v_fma_f16 v51, v40, 0xb5ac, -v51
	v_fmamk_f16 v62, v40, 0xbbc4, v52
	v_mul_f16_e32 v64, 0xbbc4, v60
	v_add_f16_e32 v47, v34, v47
	v_fmac_f16_e32 v63, 0xbb7b, v38
	v_add_f16_e32 v54, v61, v54
	v_add_f16_e32 v45, v51, v45
	;; [unrolled: 1-line block ×3, first 2 shown]
	v_fmamk_f16 v55, v38, 0x33a8, v64
	v_mul_f16_e32 v61, 0x394e, v43
	v_mul_f16_e32 v62, 0xb9fd, v60
	v_fma_f16 v52, v40, 0xbbc4, -v52
	v_add_f16_e32 v57, v34, v57
	v_add_f16_e32 v46, v63, v46
	;; [unrolled: 1-line block ×3, first 2 shown]
	v_fmamk_f16 v56, v40, 0xb9fd, v61
	v_fmamk_f16 v63, v38, 0xb94e, v62
	v_add_f16_e32 v47, v52, v47
	v_fma_f16 v52, v40, 0xb9fd, -v61
	v_mul_f16_e32 v43, 0x3bf1, v43
	v_add_f16_e32 v56, v56, v57
	v_add_f16_e32 v57, v63, v58
	v_mul_f16_e32 v58, 0x2fb7, v60
	v_add_f16_e32 v44, v52, v44
	v_pk_add_f16 v52, v19, v11 neg_lo:[0,1] neg_hi:[0,1]
	v_fmamk_f16 v60, v40, 0x2fb7, v43
	v_fmac_f16_e32 v62, 0x394e, v38
	v_fmamk_f16 v61, v38, 0xbbf1, v58
	v_pk_add_f16 v11, v11, v19
	v_pk_mul_f16 v19, 0xbbf1, v52 op_sel_hi:[0,1]
	v_add_f16_e32 v50, v60, v50
	v_lshrrev_b32_e32 v60, 16, v52
	v_add_f16_e32 v42, v34, v42
	v_fmac_f16_e32 v64, 0xb3a8, v38
	v_add_f16_e32 v49, v62, v49
	v_add_f16_e32 v59, v61, v59
	v_pk_fma_f16 v61, 0x2fb7, v11, v19 op_sel:[0,0,1] op_sel_hi:[0,1,0]
	v_pk_fma_f16 v19, 0x2fb7, v11, v19 op_sel:[0,0,1] op_sel_hi:[0,1,0] neg_lo:[0,0,1] neg_hi:[0,0,1]
	v_fma_f16 v43, v40, 0x2fb7, -v43
	v_mul_f16_e32 v62, 0xb3a8, v60
	v_lshrrev_b32_e32 v63, 16, v11
	v_fmac_f16_e32 v58, 0x3bf1, v38
	v_add_f16_e32 v48, v64, v48
	v_bfi_b32 v64, 0xffff, v61, v19
	v_add_f16_e32 v42, v43, v42
	v_fmamk_f16 v43, v11, 0xbbc4, v62
	v_mul_f16_e32 v65, 0xbbc4, v63
	v_add_f16_e32 v39, v58, v39
	v_mul_f16_e32 v58, 0x3b7b, v60
	v_pk_add_f16 v41, v64, v41
	v_add_f16_e32 v43, v43, v53
	v_fmamk_f16 v53, v52, 0x33a8, v65
	v_fma_f16 v62, v11, 0xbbc4, -v62
	v_fmamk_f16 v64, v11, 0xb5ac, v58
	v_mul_f16_e32 v66, 0xb5ac, v63
	v_fmac_f16_e32 v65, 0xb3a8, v52
	v_add_f16_e32 v53, v53, v54
	v_add_f16_e32 v45, v62, v45
	;; [unrolled: 1-line block ×3, first 2 shown]
	v_fmamk_f16 v54, v52, 0xbb7b, v66
	v_mul_f16_e32 v62, 0x3770, v60
	v_mul_f16_e32 v64, 0x3b15, v63
	v_add_f16_e32 v46, v65, v46
	v_fma_f16 v58, v11, 0xb5ac, -v58
	v_add_f16_e32 v54, v54, v55
	v_fmamk_f16 v55, v11, 0x3b15, v62
	v_fmamk_f16 v65, v52, 0xb770, v64
	v_fmac_f16_e32 v64, 0x3770, v52
	v_add_f16_e32 v47, v58, v47
	v_fma_f16 v58, v11, 0x3b15, -v62
	v_add_f16_e32 v55, v55, v56
	v_add_f16_e32 v56, v65, v57
	v_mul_f16_e32 v57, 0xba95, v60
	v_mul_f16_e32 v60, 0x388b, v63
	v_add_f16_e32 v44, v58, v44
	v_pk_add_f16 v58, v27, v13 neg_lo:[0,1] neg_hi:[0,1]
	v_pk_add_f16 v13, v13, v27
	v_fmamk_f16 v62, v11, 0x388b, v57
	v_add_f16_e32 v49, v64, v49
	v_fma_f16 v57, v11, 0x388b, -v57
	v_fmamk_f16 v63, v52, 0x3a95, v60
	v_lshrrev_b32_e32 v65, 16, v13
	v_add_f16_e32 v50, v62, v50
	v_lshrrev_b32_e32 v62, 16, v58
	v_pk_mul_f16 v27, 0xbb7b, v58 op_sel_hi:[0,1]
	v_add_f16_e32 v42, v57, v42
	v_mul_f16_e32 v67, 0xb9fd, v65
	v_fmac_f16_e32 v66, 0x3b7b, v52
	v_mul_f16_e32 v64, 0x394e, v62
	v_add_f16_e32 v59, v63, v59
	v_pk_fma_f16 v63, 0xb5ac, v13, v27 op_sel:[0,0,1] op_sel_hi:[0,1,0]
	v_pk_fma_f16 v27, 0xb5ac, v13, v27 op_sel:[0,0,1] op_sel_hi:[0,1,0] neg_lo:[0,0,1] neg_hi:[0,0,1]
	v_fmac_f16_e32 v60, 0xba95, v52
	v_fmamk_f16 v57, v13, 0xb9fd, v64
	v_fma_f16 v64, v13, 0xb9fd, -v64
	v_mul_f16_e32 v68, 0x3b15, v65
	v_add_f16_e32 v48, v66, v48
	v_bfi_b32 v66, 0xffff, v63, v27
	v_add_f16_e32 v43, v57, v43
	v_fmamk_f16 v57, v58, 0xb94e, v67
	v_add_f16_e32 v39, v60, v39
	v_mul_f16_e32 v60, 0x3770, v62
	v_add_f16_e32 v45, v64, v45
	v_mul_f16_e32 v64, 0xbbf1, v62
	v_add_f16_e32 v53, v57, v53
	v_fmamk_f16 v57, v58, 0xb770, v68
	v_pk_add_f16 v41, v66, v41
	v_fmamk_f16 v66, v13, 0x3b15, v60
	v_fma_f16 v60, v13, 0x3b15, -v60
	v_fmac_f16_e32 v67, 0x394e, v58
	v_add_f16_e32 v54, v57, v54
	v_fmamk_f16 v57, v13, 0x2fb7, v64
	v_add_f16_e32 v51, v66, v51
	v_add_f16_e32 v47, v60, v47
	v_fma_f16 v60, v13, 0x2fb7, -v64
	v_mul_f16_e32 v66, 0x2fb7, v65
	v_add_f16_e32 v55, v57, v55
	v_mul_f16_e32 v57, 0x33a8, v62
	v_add_f16_e32 v46, v67, v46
	v_add_f16_e32 v44, v60, v44
	v_pk_add_f16 v60, v25, v15 neg_lo:[0,1] neg_hi:[0,1]
	v_fmamk_f16 v67, v58, 0x3bf1, v66
	v_fmamk_f16 v64, v13, 0xbbc4, v57
	v_mul_f16_e32 v62, 0xbbc4, v65
	v_fmac_f16_e32 v66, 0xbbf1, v58
	v_pk_add_f16 v15, v15, v25
	v_add_f16_e32 v56, v67, v56
	v_add_f16_e32 v50, v64, v50
	v_lshrrev_b32_e32 v64, 16, v60
	v_fmamk_f16 v65, v58, 0xb3a8, v62
	v_pk_mul_f16 v25, 0xb94e, v60 op_sel_hi:[0,1]
	v_add_f16_e32 v49, v66, v49
	v_fma_f16 v57, v13, 0xbbc4, -v57
	v_mul_f16_e32 v66, 0x3bf1, v64
	v_lshrrev_b32_e32 v67, 16, v15
	v_fmac_f16_e32 v68, 0x3770, v58
	v_add_f16_e32 v59, v65, v59
	v_pk_fma_f16 v65, 0xb9fd, v15, v25 op_sel:[0,0,1] op_sel_hi:[0,1,0]
	v_pk_fma_f16 v25, 0xb9fd, v15, v25 op_sel:[0,0,1] op_sel_hi:[0,1,0] neg_lo:[0,0,1] neg_hi:[0,0,1]
	v_fmac_f16_e32 v62, 0x33a8, v58
	v_add_f16_e32 v42, v57, v42
	v_fmamk_f16 v57, v15, 0x2fb7, v66
	v_mul_f16_e32 v69, 0x2fb7, v67
	v_add_f16_e32 v48, v68, v48
	v_bfi_b32 v68, 0xffff, v65, v25
	v_add_f16_e32 v39, v62, v39
	v_mul_f16_e32 v62, 0xba95, v64
	v_add_f16_e32 v43, v57, v43
	v_fmamk_f16 v57, v60, 0xbbf1, v69
	v_fma_f16 v66, v15, 0x2fb7, -v66
	v_mul_f16_e32 v70, 0x388b, v67
	v_pk_add_f16 v41, v68, v41
	v_fmamk_f16 v68, v15, 0x388b, v62
	v_add_f16_e32 v53, v57, v53
	v_add_f16_e32 v45, v66, v45
	v_fmamk_f16 v57, v60, 0x3a95, v70
	v_mul_f16_e32 v66, 0x33a8, v64
	v_fma_f16 v62, v15, 0x388b, -v62
	v_fmac_f16_e32 v69, 0x3bf1, v60
	v_add_f16_e32 v51, v68, v51
	v_add_f16_e32 v54, v57, v54
	v_fmamk_f16 v57, v15, 0xbbc4, v66
	v_add_f16_e32 v47, v62, v47
	v_fma_f16 v62, v15, 0xbbc4, -v66
	v_mul_f16_e32 v68, 0xbbc4, v67
	v_add_f16_e32 v46, v69, v46
	v_add_f16_e32 v55, v57, v55
	v_mul_f16_e32 v57, 0x3770, v64
	v_mul_f16_e32 v64, 0x3b15, v67
	v_add_f16_e32 v44, v62, v44
	v_pk_add_f16 v62, v23, v17 neg_lo:[0,1] neg_hi:[0,1]
	v_fmamk_f16 v69, v60, 0xb3a8, v68
	v_fmac_f16_e32 v68, 0x33a8, v60
	v_fmamk_f16 v66, v15, 0x3b15, v57
	v_fmamk_f16 v67, v60, 0xb770, v64
	v_pk_add_f16 v17, v17, v23
	v_pk_mul_f16 v23, 0xb3a8, v62 op_sel_hi:[0,1]
	v_fmac_f16_e32 v70, 0xba95, v60
	v_add_f16_e32 v49, v68, v49
	v_add_f16_e32 v50, v66, v50
	;; [unrolled: 1-line block ×3, first 2 shown]
	v_lshrrev_b32_e32 v66, 16, v62
	v_pk_fma_f16 v67, 0xbbc4, v17, v23 op_sel:[0,0,1] op_sel_hi:[0,1,0]
	v_pk_fma_f16 v23, 0xbbc4, v17, v23 op_sel:[0,0,1] op_sel_hi:[0,1,0] neg_lo:[0,0,1] neg_hi:[0,0,1]
	v_lshrrev_b32_e32 v68, 16, v17
	v_add_f16_e32 v48, v70, v48
	v_add_f16_e32 v56, v69, v56
	v_fma_f16 v57, v15, 0x3b15, -v57
	v_mul_f16_e32 v69, 0x3770, v66
	v_fmac_f16_e32 v64, 0x3770, v60
	v_bfi_b32 v70, 0xffff, v67, v23
	v_mul_f16_e32 v71, 0x3b15, v68
	v_add_f16_e32 v42, v57, v42
	v_fmamk_f16 v57, v17, 0x3b15, v69
	v_add_f16_e32 v39, v64, v39
	v_pk_add_f16 v41, v70, v41
	v_fmamk_f16 v64, v62, 0xb770, v71
	v_mul_f16_e32 v70, 0xb94e, v66
	v_add_f16_e32 v43, v57, v43
	v_fma_f16 v57, v17, 0x3b15, -v69
	v_mul_f16_e32 v69, 0xb9fd, v68
	v_add_f16_e32 v53, v64, v53
	v_fmamk_f16 v64, v17, 0xb9fd, v70
	v_fmac_f16_e32 v71, 0x3770, v62
	v_add_f16_e32 v45, v57, v45
	v_mul_f16_e32 v57, 0x3a95, v66
	v_mul_f16_e32 v72, 0x388b, v68
	v_add_f16_e32 v51, v64, v51
	v_fmamk_f16 v64, v62, 0x394e, v69
	v_add_f16_e32 v46, v71, v46
	v_fmamk_f16 v71, v17, 0x388b, v57
	v_fma_f16 v57, v17, 0x388b, -v57
	v_mul_f16_e32 v66, 0xbb7b, v66
	v_add_f16_e32 v54, v64, v54
	v_fmamk_f16 v64, v62, 0xba95, v72
	v_mul_f16_e32 v68, 0xb5ac, v68
	v_add_f16_e32 v44, v57, v44
	v_fmamk_f16 v57, v17, 0xb5ac, v66
	v_pk_mul_f16 v37, 0xbbc4, v37 op_sel_hi:[0,1]
	v_add_f16_e32 v56, v64, v56
	v_fmamk_f16 v64, v62, 0x3b7b, v68
	v_pk_mul_f16 v40, 0x3b15, v40 op_sel_hi:[0,1]
	v_add_f16_e32 v50, v57, v50
	v_fma_f16 v66, v17, 0xb5ac, -v66
	v_pk_mul_f16 v11, 0xb9fd, v11 op_sel_hi:[0,1]
	v_add_f16_e32 v57, v64, v59
	v_pk_fma_f16 v59, 0xb3a8, v5, v37 op_sel:[0,0,1] op_sel_hi:[0,1,0]
	v_pk_fma_f16 v5, 0xb3a8, v5, v37 op_sel:[0,0,1] op_sel_hi:[0,1,0] neg_lo:[0,1,0] neg_hi:[0,1,0]
	v_pk_fma_f16 v37, 0x3770, v38, v40 op_sel:[0,0,1] op_sel_hi:[0,1,0]
	v_add_f16_e32 v42, v66, v42
	v_pack_b32_f16 v51, v51, v54
	v_alignbit_b32 v64, s0, v59, 16
	v_pk_add_f16 v5, v34, v5 op_sel:[1,0] op_sel_hi:[0,1]
	v_alignbit_b32 v66, s0, v37, 16
	v_pk_fma_f16 v38, 0x3770, v38, v40 op_sel:[0,0,1] op_sel_hi:[0,1,0] neg_lo:[0,1,0] neg_hi:[0,1,0]
	v_pk_fma_f16 v40, 0xb94e, v52, v11 op_sel:[0,0,1] op_sel_hi:[0,1,0]
	v_pk_add_f16 v54, v34, v64
	v_alignbit_b32 v64, s0, v34, 16
	v_pk_mul_f16 v13, 0x388b, v13 op_sel_hi:[0,1]
	v_pk_add_f16 v5, v38, v5
	v_alignbit_b32 v38, s0, v40, 16
	v_pk_add_f16 v54, v66, v54
	v_pk_add_f16 v59, v64, v59
	v_pk_fma_f16 v11, 0xb94e, v52, v11 op_sel:[0,0,1] op_sel_hi:[0,1,0] neg_lo:[0,1,0] neg_hi:[0,1,0]
	v_pk_fma_f16 v52, 0x3a95, v58, v13 op_sel:[0,0,1] op_sel_hi:[0,1,0]
	v_pk_mul_f16 v15, 0xb5ac, v15 op_sel_hi:[0,1]
	v_pk_add_f16 v38, v38, v54
	v_pk_add_f16 v37, v37, v59
	;; [unrolled: 1-line block ×3, first 2 shown]
	v_alignbit_b32 v11, s0, v52, 16
	v_pk_fma_f16 v13, 0x3a95, v58, v13 op_sel:[0,0,1] op_sel_hi:[0,1,0] neg_lo:[0,1,0] neg_hi:[0,1,0]
	v_pk_fma_f16 v54, 0xbb7b, v60, v15 op_sel:[0,0,1] op_sel_hi:[0,1,0]
	v_bfi_b32 v21, 0xffff, v35, v21
	v_fma_f16 v70, v17, 0xb9fd, -v70
	v_pk_add_f16 v37, v40, v37
	v_pk_add_f16 v11, v11, v38
	;; [unrolled: 1-line block ×3, first 2 shown]
	v_alignbit_b32 v13, s0, v54, 16
	v_pk_mul_f16 v17, 0x2fb7, v17 op_sel_hi:[0,1]
	v_pk_add_f16 v21, v34, v21
	v_bfi_b32 v9, 0xffff, v9, v36
	v_pk_add_f16 v34, v52, v37
	v_pk_fma_f16 v15, 0xbb7b, v60, v15 op_sel:[0,0,1] op_sel_hi:[0,1,0] neg_lo:[0,1,0] neg_hi:[0,1,0]
	v_pk_add_f16 v11, v13, v11
	v_pk_fma_f16 v13, 0x3bf1, v62, v17 op_sel:[0,0,1] op_sel_hi:[0,1,0]
	v_pk_add_f16 v9, v9, v21
	v_bfi_b32 v19, 0xffff, v19, v61
	v_pk_add_f16 v5, v15, v5
	v_pk_add_f16 v15, v54, v34
	v_alignbit_b32 v21, s0, v13, 16
	v_pk_fma_f16 v17, 0x3bf1, v62, v17 op_sel:[0,0,1] op_sel_hi:[0,1,0] neg_lo:[0,1,0] neg_hi:[0,1,0]
	v_pk_add_f16 v9, v19, v9
	v_bfi_b32 v19, 0xffff, v27, v63
	v_fmac_f16_e32 v72, 0x3a95, v62
	v_fmac_f16_e32 v68, 0xbb7b, v62
	;; [unrolled: 1-line block ×3, first 2 shown]
	v_pk_add_f16 v11, v21, v11
	v_pk_add_f16 v5, v17, v5
	;; [unrolled: 1-line block ×4, first 2 shown]
	v_bfi_b32 v15, 0xffff, v25, v65
	v_add_f16_e32 v55, v71, v55
	v_add_f16_e32 v49, v72, v49
	;; [unrolled: 1-line block ×5, first 2 shown]
	v_alignbit_b32 v13, v13, v5, 16
	v_pack_b32_f16 v5, v11, v5
	v_pk_add_f16 v9, v15, v9
	v_bfi_b32 v11, 0xffff, v23, v67
	v_cmp_ne_u32_e64 s0, 0, v0
	v_pack_b32_f16 v27, v43, v53
	v_pack_b32_f16 v17, v50, v57
	;; [unrolled: 1-line block ×7, first 2 shown]
	v_pk_add_f16 v9, v11, v9
	ds_store_2addr_b32 v33, v7, v41 offset1:1
	ds_store_2addr_b32 v33, v27, v51 offset0:2 offset1:3
	ds_store_2addr_b32 v33, v19, v17 offset0:4 offset1:5
	;; [unrolled: 1-line block ×5, first 2 shown]
	ds_store_b32 v33, v9 offset:48
	v_cmpx_eq_u32_e32 0, v0
	s_cbranch_execz .LBB0_13
; %bb.12:
	v_pk_add_f16 v5, v4, v20
	v_pk_add_f16 v25, v1, v20
	v_pk_add_f16 v19, v20, v1 neg_lo:[0,1] neg_hi:[0,1]
	v_pk_add_f16 v20, v10, v24
	v_pk_add_f16 v9, v24, v10 neg_lo:[0,1] neg_hi:[0,1]
	v_pk_add_f16 v5, v5, v18
	v_pk_add_f16 v23, v6, v18
	v_pk_add_f16 v17, v18, v6 neg_lo:[0,1] neg_hi:[0,1]
	v_pk_add_f16 v18, v12, v22
	v_pk_add_f16 v7, v22, v12 neg_lo:[0,1] neg_hi:[0,1]
	v_pk_add_f16 v5, v5, v26
	v_lshrrev_b32_e32 v27, 16, v25
	v_pk_add_f16 v21, v8, v26
	v_pk_add_f16 v11, v14, v16
	v_lshrrev_b32_e32 v33, 16, v23
	v_pk_add_f16 v24, v5, v24
	v_pk_add_f16 v5, v16, v14 neg_lo:[0,1] neg_hi:[0,1]
	v_mul_f16_e32 v36, 0xb9fd, v27
	v_pk_add_f16 v15, v26, v8 neg_lo:[0,1] neg_hi:[0,1]
	v_lshrrev_b32_e32 v26, 16, v4
	v_pk_add_f16 v22, v24, v22
	v_lshrrev_b32_e32 v24, 16, v21
	v_mul_f16_e32 v38, 0x2fb7, v33
	v_fmamk_f16 v39, v19, 0x394e, v36
	v_lshrrev_b32_e32 v34, 16, v20
	v_pk_add_f16 v16, v22, v16
	v_lshrrev_b32_e32 v37, 16, v19
	v_mul_f16_e32 v40, 0x388b, v24
	v_fmamk_f16 v41, v17, 0xbbf1, v38
	v_add_f16_e32 v39, v26, v39
	v_pk_add_f16 v14, v16, v14
	v_lshrrev_b32_e32 v16, 16, v17
	v_mul_f16_e32 v42, 0xbbc4, v34
	v_fmamk_f16 v43, v15, 0x3a95, v40
	v_add_f16_e32 v39, v41, v39
	v_pk_add_f16 v12, v14, v12
	v_mul_f16_e32 v41, 0xb94e, v37
	v_lshrrev_b32_e32 v14, 16, v15
	v_fmamk_f16 v44, v9, 0xb3a8, v42
	v_add_f16_e32 v39, v43, v39
	v_pk_add_f16 v10, v12, v10
	v_fmamk_f16 v45, v25, 0xb9fd, v41
	v_lshrrev_b32_e32 v35, 16, v18
	v_lshrrev_b32_e32 v46, 16, v9
	v_add_f16_e32 v39, v44, v39
	v_pk_add_f16 v8, v10, v8
	v_mul_f16_e32 v10, 0x3bf1, v16
	v_add_f16_e32 v45, v4, v45
	v_mul_f16_e32 v12, 0x3b15, v35
	v_lshrrev_b32_e32 v50, 16, v7
	v_pk_add_f16 v6, v8, v6
	v_mul_f16_e32 v8, 0xba95, v14
	v_fmamk_f16 v44, v23, 0x2fb7, v10
	v_lshrrev_b32_e32 v22, 16, v11
	v_fmamk_f16 v43, v7, 0xb770, v12
	v_mul_f16_e32 v54, 0x3770, v50
	v_lshrrev_b32_e32 v55, 16, v5
	v_add_f16_e32 v44, v44, v45
	v_fmamk_f16 v45, v21, 0x388b, v8
	v_add_f16_e32 v39, v43, v39
	v_pk_add_f16 v1, v6, v1
	v_mul_f16_e32 v6, 0xb5ac, v22
	v_mul_f16_e32 v43, 0xb5ac, v27
	v_add_f16_e32 v44, v45, v44
	v_mul_f16_e32 v45, 0x33a8, v46
	v_mul_f16_e32 v57, 0xbb7b, v55
	v_fmamk_f16 v47, v5, 0x3b7b, v6
	v_fmamk_f16 v48, v19, 0x3b7b, v43
	v_mul_f16_e32 v49, 0xb9fd, v33
	v_fmamk_f16 v53, v20, 0xbbc4, v45
	v_mul_f16_e32 v59, 0xbb7b, v37
	v_fmac_f16_e32 v36, 0xb94e, v19
	v_add_f16_e32 v48, v26, v48
	v_fmamk_f16 v51, v17, 0xb94e, v49
	v_add_f16_e32 v44, v53, v44
	v_fmamk_f16 v53, v18, 0x3b15, v54
	v_mul_f16_e32 v52, 0x3b15, v24
	v_add_f16_e32 v39, v47, v39
	v_fmamk_f16 v47, v25, 0xb5ac, v59
	v_add_f16_e32 v36, v26, v36
	v_add_f16_e32 v44, v53, v44
	v_fmamk_f16 v53, v11, 0xb5ac, v57
	v_fmac_f16_e32 v38, 0x3bf1, v17
	v_add_f16_e32 v48, v51, v48
	v_fmamk_f16 v51, v15, 0xb770, v52
	v_mul_f16_e32 v56, 0x2fb7, v34
	v_add_f16_e32 v44, v53, v44
	v_mul_f16_e32 v53, 0x394e, v16
	v_add_f16_e32 v47, v4, v47
	;; [unrolled: 2-line block ×3, first 2 shown]
	v_fmac_f16_e32 v40, 0xba95, v15
	v_fmamk_f16 v61, v23, 0xb9fd, v53
	v_add_f16_e32 v48, v51, v48
	v_fmamk_f16 v51, v9, 0x3bf1, v56
	v_mul_f16_e32 v58, 0xbbc4, v35
	v_mul_f16_e32 v66, 0xbbf1, v46
	v_add_f16_e32 v47, v61, v47
	v_fmamk_f16 v61, v21, 0x3b15, v62
	v_fma_f16 v41, v25, 0xb9fd, -v41
	v_add_f16_e32 v36, v40, v36
	v_fmac_f16_e32 v42, 0x33a8, v9
	v_add_f16_e32 v48, v51, v48
	v_fmamk_f16 v51, v7, 0xb3a8, v58
	v_mul_f16_e32 v60, 0x2fb7, v27
	v_add_f16_e32 v47, v61, v47
	v_fmamk_f16 v61, v20, 0x2fb7, v66
	v_mul_f16_e32 v69, 0x33a8, v50
	v_add_f16_e32 v40, v4, v41
	v_fma_f16 v10, v23, 0x2fb7, -v10
	v_fmac_f16_e32 v43, 0xbb7b, v19
	v_add_f16_e32 v36, v42, v36
	v_fmac_f16_e32 v12, 0x3770, v7
	v_add_f16_e32 v48, v51, v48
	v_mul_f16_e32 v51, 0x388b, v22
	v_fmamk_f16 v64, v19, 0x3bf1, v60
	v_mul_f16_e32 v65, 0xbbc4, v33
	v_add_f16_e32 v47, v61, v47
	v_fmamk_f16 v61, v18, 0xbbc4, v69
	v_mul_f16_e32 v71, 0x3a95, v55
	v_add_f16_e32 v10, v10, v40
	v_fma_f16 v8, v21, 0x388b, -v8
	v_add_f16_e32 v40, v26, v43
	v_fmac_f16_e32 v49, 0x394e, v17
	v_add_f16_e32 v12, v12, v36
	v_fmac_f16_e32 v6, 0xbb7b, v5
	v_fmamk_f16 v63, v5, 0xba95, v51
	v_add_f16_e32 v64, v26, v64
	v_fmamk_f16 v67, v17, 0x33a8, v65
	v_mul_f16_e32 v68, 0xb5ac, v24
	v_add_f16_e32 v47, v61, v47
	v_fmamk_f16 v61, v11, 0x388b, v71
	v_mul_f16_e32 v73, 0xbbf1, v37
	v_add_f16_e32 v8, v8, v10
	v_fma_f16 v10, v20, 0xbbc4, -v45
	v_add_f16_e32 v36, v49, v40
	v_fmac_f16_e32 v52, 0x3770, v15
	v_add_f16_e32 v6, v6, v12
	v_fma_f16 v12, v25, 0xb5ac, -v59
	v_add_f16_e32 v64, v67, v64
	v_fmamk_f16 v67, v15, 0xbb7b, v68
	v_mul_f16_e32 v70, 0x3b15, v34
	v_add_f16_e32 v48, v63, v48
	v_add_f16_e32 v47, v61, v47
	v_fmamk_f16 v61, v25, 0x2fb7, v73
	v_mul_f16_e32 v63, 0xb3a8, v16
	v_add_f16_e32 v8, v10, v8
	v_fma_f16 v10, v18, 0x3b15, -v54
	v_add_f16_e32 v36, v52, v36
	v_fmac_f16_e32 v56, 0xbbf1, v9
	v_add_f16_e32 v12, v4, v12
	v_fma_f16 v40, v23, 0xb9fd, -v53
	v_add_f16_e32 v64, v67, v64
	v_fmamk_f16 v67, v9, 0xb770, v70
	v_mul_f16_e32 v72, 0x388b, v35
	v_mul_f16_e32 v27, 0x388b, v27
	v_add_f16_e32 v61, v4, v61
	v_fmamk_f16 v74, v23, 0xbbc4, v63
	v_mul_f16_e32 v75, 0x3b7b, v14
	v_add_f16_e32 v8, v10, v8
	v_fma_f16 v10, v11, 0xb5ac, -v57
	v_add_f16_e32 v36, v56, v36
	v_fmac_f16_e32 v58, 0x33a8, v7
	v_add_f16_e32 v12, v40, v12
	v_fma_f16 v40, v21, 0x3b15, -v62
	v_fmac_f16_e32 v60, 0xbbf1, v19
	v_add_f16_e32 v64, v67, v64
	v_fmamk_f16 v67, v7, 0x3a95, v72
	v_fmamk_f16 v77, v19, 0x3a95, v27
	v_mul_f16_e32 v33, 0xb5ac, v33
	v_add_f16_e32 v61, v74, v61
	v_fmamk_f16 v74, v21, 0xb5ac, v75
	v_mul_f16_e32 v78, 0x3770, v46
	v_add_f16_e32 v8, v10, v8
	v_add_f16_e32 v10, v58, v36
	;; [unrolled: 1-line block ×3, first 2 shown]
	v_fma_f16 v36, v20, 0x2fb7, -v66
	v_add_f16_e32 v40, v26, v60
	v_fmac_f16_e32 v65, 0xb3a8, v17
	v_add_f16_e32 v64, v67, v64
	v_mul_f16_e32 v67, 0xb9fd, v22
	v_add_f16_e32 v77, v26, v77
	v_fmamk_f16 v79, v17, 0x3b7b, v33
	v_mul_f16_e32 v24, 0xbbc4, v24
	v_add_f16_e32 v61, v74, v61
	v_fmamk_f16 v74, v20, 0x3b15, v78
	v_mul_f16_e32 v80, 0xba95, v50
	v_fma_f16 v42, v25, 0x2fb7, -v73
	v_add_f16_e32 v12, v36, v12
	v_fma_f16 v36, v18, 0xbbc4, -v69
	v_add_f16_e32 v40, v65, v40
	v_fmac_f16_e32 v68, 0x3b7b, v15
	v_fmamk_f16 v76, v5, 0x394e, v67
	v_add_f16_e32 v77, v79, v77
	v_fmamk_f16 v79, v15, 0x33a8, v24
	v_mul_f16_e32 v34, 0xb9fd, v34
	v_add_f16_e32 v61, v74, v61
	v_fmamk_f16 v74, v18, 0x388b, v80
	v_add_f16_e32 v42, v4, v42
	v_fma_f16 v43, v23, 0xbbc4, -v63
	v_add_f16_e32 v12, v36, v12
	v_fma_f16 v36, v11, 0x388b, -v71
	v_add_f16_e32 v40, v68, v40
	v_fmac_f16_e32 v70, 0x3770, v9
	v_add_f16_e32 v64, v76, v64
	v_add_f16_e32 v76, v79, v77
	v_fmamk_f16 v77, v9, 0xb94e, v34
	v_mul_f16_e32 v35, 0x2fb7, v35
	v_add_f16_e32 v61, v74, v61
	v_mul_f16_e32 v37, 0xba95, v37
	v_mul_f16_e32 v74, 0xb94e, v55
	v_add_f16_e32 v42, v43, v42
	v_fma_f16 v43, v21, 0xb5ac, -v75
	v_add_f16_e32 v12, v36, v12
	v_fmac_f16_e32 v27, 0xba95, v19
	v_add_f16_e32 v36, v70, v40
	v_fmac_f16_e32 v72, 0xba95, v7
	v_add_f16_e32 v76, v77, v76
	v_fmamk_f16 v77, v7, 0xbbf1, v35
	v_mul_f16_e32 v22, 0x3b15, v22
	v_fmamk_f16 v79, v25, 0x388b, v37
	v_mul_f16_e32 v16, 0xbb7b, v16
	v_fmamk_f16 v81, v11, 0xb9fd, v74
	v_add_f16_e32 v40, v43, v42
	v_fma_f16 v42, v20, 0x3b15, -v78
	v_add_f16_e32 v26, v26, v27
	v_fmac_f16_e32 v33, 0xbb7b, v17
	v_add_f16_e32 v27, v72, v36
	v_fma_f16 v36, v25, 0x388b, -v37
	v_add_f16_e32 v76, v77, v76
	v_fmamk_f16 v77, v5, 0xb770, v22
	v_add_f16_e32 v79, v4, v79
	v_fmamk_f16 v82, v23, 0xb5ac, v16
	v_mul_f16_e32 v14, 0xb3a8, v14
	v_add_f16_e32 v61, v81, v61
	v_pk_mul_f16 v81, 0xb770, v19 op_sel_hi:[0,1]
	v_add_f16_e32 v37, v42, v40
	v_add_f16_e32 v26, v33, v26
	v_fmac_f16_e32 v24, 0xb3a8, v15
	v_fma_f16 v33, v18, 0x388b, -v80
	v_add_f16_e32 v36, v4, v36
	v_fma_f16 v16, v23, 0xb5ac, -v16
	v_add_f16_e32 v76, v77, v76
	v_add_f16_e32 v77, v82, v79
	v_fmamk_f16 v79, v21, 0xbbc4, v14
	v_mul_f16_e32 v46, 0x394e, v46
	v_pk_fma_f16 v82, 0x3b15, v25, v81 op_sel:[0,0,1] op_sel_hi:[0,1,0]
	v_pk_fma_f16 v81, 0x3b15, v25, v81 op_sel:[0,0,1] op_sel_hi:[0,1,0] neg_lo:[0,0,1] neg_hi:[0,0,1]
	v_pk_mul_f16 v83, 0xba95, v17 op_sel_hi:[0,1]
	v_add_f16_e32 v24, v24, v26
	v_fmac_f16_e32 v34, 0x394e, v9
	v_add_f16_e32 v26, v33, v37
	v_add_f16_e32 v16, v16, v36
	v_fma_f16 v14, v21, 0xbbc4, -v14
	v_fma_f16 v33, v11, 0xb9fd, -v74
	v_pk_mul_f16 v25, 0xbbc4, v25 op_sel_hi:[0,1]
	v_add_f16_e32 v77, v79, v77
	v_fmamk_f16 v79, v20, 0xb9fd, v46
	v_mul_f16_e32 v50, 0x3bf1, v50
	v_bfi_b32 v84, 0xffff, v82, v81
	v_pk_fma_f16 v85, 0x388b, v23, v83 op_sel:[0,0,1] op_sel_hi:[0,1,0]
	v_pk_fma_f16 v83, 0x388b, v23, v83 op_sel:[0,0,1] op_sel_hi:[0,1,0] neg_lo:[0,0,1] neg_hi:[0,0,1]
	v_pk_mul_f16 v86, 0xbbf1, v15 op_sel_hi:[0,1]
	v_add_f16_e32 v24, v34, v24
	v_fmac_f16_e32 v35, 0x3bf1, v7
	v_add_f16_e32 v14, v14, v16
	v_fma_f16 v16, v20, 0xb9fd, -v46
	v_add_f16_e32 v26, v33, v26
	v_pk_fma_f16 v33, 0xb3a8, v19, v25 op_sel:[0,0,1] op_sel_hi:[0,1,0]
	v_pk_mul_f16 v23, 0x3b15, v23 op_sel_hi:[0,1]
	v_add_f16_e32 v77, v79, v77
	v_fmamk_f16 v79, v18, 0x2fb7, v50
	v_pk_add_f16 v84, v4, v84
	v_bfi_b32 v87, 0xffff, v85, v83
	v_pk_fma_f16 v88, 0x2fb7, v21, v86 op_sel:[0,0,1] op_sel_hi:[0,1,0]
	v_pk_fma_f16 v86, 0x2fb7, v21, v86 op_sel:[0,0,1] op_sel_hi:[0,1,0] neg_lo:[0,0,1] neg_hi:[0,0,1]
	v_pk_mul_f16 v89, 0xbb7b, v9 op_sel_hi:[0,1]
	v_mul_f16_e32 v55, 0x3770, v55
	v_add_f16_e32 v24, v35, v24
	v_add_f16_e32 v14, v16, v14
	v_fma_f16 v16, v18, 0x2fb7, -v50
	s_wait_alu 0xf1ff
	v_alignbit_b32 v34, s0, v33, 16
	v_pk_fma_f16 v35, 0x3770, v17, v23 op_sel:[0,0,1] op_sel_hi:[0,1,0]
	v_pk_mul_f16 v21, 0xb9fd, v21 op_sel_hi:[0,1]
	v_add_f16_e32 v77, v79, v77
	v_pk_add_f16 v79, v87, v84
	v_pk_fma_f16 v87, 0xb5ac, v20, v89 op_sel:[0,0,1] op_sel_hi:[0,1,0]
	v_pk_fma_f16 v89, 0xb5ac, v20, v89 op_sel:[0,0,1] op_sel_hi:[0,1,0] neg_lo:[0,0,1] neg_hi:[0,0,1]
	v_pk_mul_f16 v90, 0xb94e, v7 op_sel_hi:[0,1]
	v_fmac_f16_e32 v22, 0x3770, v5
	v_add_f16_e32 v14, v16, v14
	v_fma_f16 v16, v11, 0x3b15, -v55
	v_pk_add_f16 v34, v4, v34
	v_alignbit_b32 v36, s0, v35, 16
	v_pk_fma_f16 v37, 0xb94e, v15, v21 op_sel:[0,0,1] op_sel_hi:[0,1,0]
	v_pk_mul_f16 v20, 0x388b, v20 op_sel_hi:[0,1]
	v_alignbit_b32 v13, v4, v4, 16
	v_pk_fma_f16 v19, 0xb3a8, v19, v25 op_sel:[0,0,1] op_sel_hi:[0,1,0] neg_lo:[0,1,0] neg_hi:[0,1,0]
	v_pk_fma_f16 v92, 0xb9fd, v18, v90 op_sel:[0,0,1] op_sel_hi:[0,1,0]
	v_pk_fma_f16 v90, 0xb9fd, v18, v90 op_sel:[0,0,1] op_sel_hi:[0,1,0] neg_lo:[0,0,1] neg_hi:[0,0,1]
	v_add_f16_e32 v22, v22, v24
	v_add_f16_e32 v14, v16, v14
	v_pk_add_f16 v16, v36, v34
	v_alignbit_b32 v24, s0, v37, 16
	v_pk_fma_f16 v34, 0x3a95, v9, v20 op_sel:[0,0,1] op_sel_hi:[0,1,0]
	v_pk_mul_f16 v18, 0xb5ac, v18 op_sel_hi:[0,1]
	v_alignbit_b32 v36, s0, v4, 16
	v_pk_add_f16 v13, v13, v19
	v_pk_fma_f16 v17, 0x3770, v17, v23 op_sel:[0,0,1] op_sel_hi:[0,1,0] neg_lo:[0,1,0] neg_hi:[0,1,0]
	v_pk_add_f16 v16, v24, v16
	v_alignbit_b32 v24, s0, v34, 16
	v_pk_fma_f16 v25, 0xbb7b, v7, v18 op_sel:[0,0,1] op_sel_hi:[0,1,0]
	v_pk_add_f16 v33, v36, v33
	v_pk_add_f16 v13, v17, v13
	v_pk_fma_f16 v15, 0xb94e, v15, v21 op_sel:[0,0,1] op_sel_hi:[0,1,0] neg_lo:[0,1,0] neg_hi:[0,1,0]
	v_bfi_b32 v17, 0xffff, v81, v82
	v_pk_mul_f16 v93, 0xb3a8, v5 op_sel_hi:[0,1]
	v_pk_add_f16 v16, v24, v16
	v_alignbit_b32 v19, s0, v25, 16
	v_pk_add_f16 v24, v35, v33
	v_bfi_b32 v84, 0xffff, v88, v86
	v_pk_add_f16 v13, v15, v13
	v_pk_fma_f16 v9, 0x3a95, v9, v20 op_sel:[0,0,1] op_sel_hi:[0,1,0] neg_lo:[0,1,0] neg_hi:[0,1,0]
	v_pk_add_f16 v4, v4, v17
	v_bfi_b32 v15, 0xffff, v83, v85
	v_fmamk_f16 v91, v11, 0x3b15, v55
	v_pk_fma_f16 v94, 0xbbc4, v11, v93 op_sel:[0,0,1] op_sel_hi:[0,1,0]
	v_pk_fma_f16 v93, 0xbbc4, v11, v93 op_sel:[0,0,1] op_sel_hi:[0,1,0] neg_lo:[0,0,1] neg_hi:[0,0,1]
	v_pk_add_f16 v16, v19, v16
	v_pk_mul_f16 v11, 0x2fb7, v11 op_sel_hi:[0,1]
	v_pk_add_f16 v19, v37, v24
	v_pk_add_f16 v79, v84, v79
	v_bfi_b32 v84, 0xffff, v87, v89
	v_pk_add_f16 v9, v9, v13
	v_pk_fma_f16 v7, 0xbb7b, v7, v18 op_sel:[0,0,1] op_sel_hi:[0,1,0] neg_lo:[0,1,0] neg_hi:[0,1,0]
	v_pk_add_f16 v4, v15, v4
	v_bfi_b32 v13, 0xffff, v86, v88
	v_pk_fma_f16 v17, 0x3bf1, v5, v11 op_sel:[0,0,1] op_sel_hi:[0,1,0]
	v_pk_add_f16 v19, v34, v19
	v_pk_add_f16 v79, v84, v79
	v_bfi_b32 v84, 0xffff, v92, v90
	v_fmac_f16_e32 v51, 0x3a95, v5
	v_fmac_f16_e32 v67, 0xb94e, v5
	v_pk_add_f16 v7, v7, v9
	v_pk_fma_f16 v5, 0x3bf1, v5, v11 op_sel:[0,0,1] op_sel_hi:[0,1,0] neg_lo:[0,1,0] neg_hi:[0,1,0]
	v_pk_add_f16 v4, v13, v4
	v_bfi_b32 v9, 0xffff, v89, v87
	v_alignbit_b32 v15, s0, v17, 16
	v_pk_add_f16 v18, v25, v19
	v_add_f16_e32 v38, v91, v77
	v_pk_add_f16 v77, v84, v79
	v_bfi_b32 v79, 0xffff, v94, v93
	v_pk_add_f16 v5, v5, v7
	v_pk_add_f16 v4, v9, v4
	v_bfi_b32 v7, 0xffff, v90, v92
	v_pk_add_f16 v13, v15, v16
	v_pk_add_f16 v15, v17, v18
	v_add_f16_e32 v10, v51, v10
	v_pk_add_f16 v41, v79, v77
	v_add_f16_e32 v27, v67, v27
	v_pk_add_f16 v4, v7, v4
	v_bfi_b32 v7, 0xffff, v93, v94
	v_pack_b32_f16 v23, v61, v64
	v_pack_b32_f16 v11, v38, v76
	;; [unrolled: 1-line block ×4, first 2 shown]
	v_alignbit_b32 v15, v15, v5, 16
	v_pack_b32_f16 v5, v13, v5
	v_pack_b32_f16 v10, v12, v10
	;; [unrolled: 1-line block ×5, first 2 shown]
	v_pk_add_f16 v4, v7, v4
	ds_store_2addr_b32 v30, v1, v41 offset0:169 offset1:170
	ds_store_2addr_b32 v30, v11, v23 offset0:171 offset1:172
	;; [unrolled: 1-line block ×6, first 2 shown]
	ds_store_b32 v30, v4 offset:724
.LBB0_13:
	s_wait_alu 0xfffe
	s_or_b32 exec_lo, exec_lo, s2
	v_add_nc_u16 v9, v0, 0x4e
	v_mov_b32_e32 v1, 0
	v_add_nc_u16 v8, v0, 0x41
	v_add_nc_u16 v10, v0, 52
	;; [unrolled: 1-line block ×3, first 2 shown]
	v_and_b32_e32 v12, 0xff, v9
	v_lshlrev_b64_e32 v[4:5], 2, v[0:1]
	v_add_nc_u16 v1, v0, 26
	v_and_b32_e32 v11, 0xff, v8
	v_and_b32_e32 v15, 0xff, v10
	;; [unrolled: 1-line block ×3, first 2 shown]
	v_mul_lo_u16 v12, 0x4f, v12
	v_and_b32_e32 v13, 0xff, v1
	v_mul_lo_u16 v11, 0x4f, v11
	v_mul_lo_u16 v15, 0x4f, v15
	;; [unrolled: 1-line block ×3, first 2 shown]
	v_lshrrev_b16 v12, 10, v12
	v_mul_lo_u16 v13, 0x4f, v13
	v_lshrrev_b16 v11, 10, v11
	v_lshrrev_b16 v15, 10, v15
	;; [unrolled: 1-line block ×3, first 2 shown]
	v_mul_lo_u16 v12, v12, 13
	v_lshrrev_b16 v13, 10, v13
	v_mul_lo_u16 v11, v11, 13
	v_mul_lo_u16 v15, v15, 13
	v_add_co_u32 v6, s1, s4, v4
	s_delay_alu instid0(VALU_DEP_4) | instskip(NEXT) | instid1(VALU_DEP_4)
	v_mul_lo_u16 v13, v13, 13
	v_sub_nc_u16 v8, v8, v11
	v_mul_lo_u16 v11, v16, 13
	v_sub_nc_u16 v9, v9, v12
	v_sub_nc_u16 v10, v10, v15
	;; [unrolled: 1-line block ×3, first 2 shown]
	v_and_b32_e32 v8, 0xff, v8
	v_sub_nc_u16 v11, v14, v11
	v_and_b32_e32 v9, 0xff, v9
	v_and_b32_e32 v10, 0xff, v10
	;; [unrolled: 1-line block ×3, first 2 shown]
	v_lshlrev_b32_e32 v20, 2, v8
	v_and_b32_e32 v8, 0xff, v11
	v_lshlrev_b32_e32 v21, 2, v9
	v_lshlrev_b32_e32 v22, 2, v10
	;; [unrolled: 1-line block ×3, first 2 shown]
	s_wait_alu 0xf1ff
	v_add_co_ci_u32_e64 v7, s1, s5, v5, s1
	v_lshlrev_b32_e32 v27, 2, v8
	global_wb scope:SCOPE_SE
	s_wait_dscnt 0x0
	s_barrier_signal -1
	s_barrier_wait -1
	global_inv scope:SCOPE_SE
	s_clause 0x5
	global_load_b32 v23, v20, s[4:5]
	global_load_b32 v24, v21, s[4:5]
	;; [unrolled: 1-line block ×3, first 2 shown]
	global_load_b32 v26, v[6:7], off
	global_load_b32 v33, v22, s[4:5]
	global_load_b32 v34, v27, s[4:5]
	ds_load_2addr_b32 v[8:9], v31 offset0:91 offset1:104
	ds_load_b32 v35, v31 offset:676
	ds_load_2addr_b32 v[10:11], v31 offset0:143 offset1:156
	ds_load_2addr_b32 v[12:13], v31 offset0:117 offset1:130
	ds_load_b32 v37, v28
	ds_load_2addr_b32 v[14:15], v31 offset0:13 offset1:26
	ds_load_2addr_b32 v[16:17], v31 offset0:39 offset1:52
	ds_load_2addr_b32 v[18:19], v31 offset0:65 offset1:78
	v_add3_u32 v1, 0, v1, v32
	v_add3_u32 v27, 0, v27, v32
	v_add3_u32 v22, 0, v22, v32
	v_add3_u32 v20, 0, v20, v32
	v_add3_u32 v21, 0, v21, v32
	v_mul_u32_u24_e32 v36, 6, v0
	global_wb scope:SCOPE_SE
	s_wait_loadcnt_dscnt 0x0
	s_barrier_signal -1
	s_barrier_wait -1
	global_inv scope:SCOPE_SE
	v_lshlrev_b32_e32 v36, 2, v36
	v_pk_mul_f16 v40, v11, v23 op_sel:[0,1]
	v_pk_mul_f16 v39, v35, v24 op_sel:[0,1]
	;; [unrolled: 1-line block ×7, first 2 shown]
	s_delay_alu instid0(VALU_DEP_4)
	v_pk_fma_f16 v44, v26, v8, v32 op_sel:[0,0,1] op_sel_hi:[1,1,0]
	v_pk_fma_f16 v8, v26, v8, v32 op_sel:[0,0,1] op_sel_hi:[1,0,0] neg_lo:[1,0,0] neg_hi:[1,0,0]
	v_pk_fma_f16 v32, v26, v9, v38 op_sel:[0,0,1] op_sel_hi:[1,1,0]
	v_pk_fma_f16 v9, v26, v9, v38 op_sel:[0,0,1] op_sel_hi:[1,0,0] neg_lo:[1,0,0] neg_hi:[1,0,0]
	;; [unrolled: 2-line block ×7, first 2 shown]
	v_bfi_b32 v8, 0xffff, v44, v8
	v_bfi_b32 v9, 0xffff, v32, v9
	v_bfi_b32 v13, 0xffff, v33, v13
	v_bfi_b32 v24, 0xffff, v26, v24
	v_bfi_b32 v12, 0xffff, v34, v12
	v_bfi_b32 v11, 0xffff, v35, v11
	v_bfi_b32 v10, 0xffff, v23, v10
	v_pk_add_f16 v8, v37, v8 neg_lo:[0,1] neg_hi:[0,1]
	v_pk_add_f16 v9, v14, v9 neg_lo:[0,1] neg_hi:[0,1]
	;; [unrolled: 1-line block ×7, first 2 shown]
	v_pk_fma_f16 v24, v37, 2.0, v8 op_sel_hi:[1,0,1] neg_lo:[0,0,1] neg_hi:[0,0,1]
	v_pk_fma_f16 v14, v14, 2.0, v9 op_sel_hi:[1,0,1] neg_lo:[0,0,1] neg_hi:[0,0,1]
	;; [unrolled: 1-line block ×7, first 2 shown]
	ds_store_2addr_b32 v31, v24, v8 offset1:13
	ds_store_2addr_b32 v31, v14, v9 offset0:26 offset1:39
	ds_store_2addr_b32 v1, v15, v12 offset0:52 offset1:65
	;; [unrolled: 1-line block ×6, first 2 shown]
	global_wb scope:SCOPE_SE
	s_wait_dscnt 0x0
	s_barrier_signal -1
	s_barrier_wait -1
	global_inv scope:SCOPE_SE
	s_clause 0x3
	global_load_b128 v[8:11], v36, s[4:5] offset:52
	global_load_b64 v[16:17], v36, s[4:5] offset:68
	global_load_b128 v[12:15], v36, s[4:5] offset:364
	global_load_b64 v[18:19], v36, s[4:5] offset:380
	ds_load_2addr_b32 v[20:21], v31 offset0:143 offset1:156
	ds_load_2addr_b32 v[22:23], v31 offset0:39 offset1:52
	;; [unrolled: 1-line block ×5, first 2 shown]
	ds_load_b32 v1, v31 offset:676
	ds_load_2addr_b32 v[34:35], v31 offset0:13 offset1:26
	ds_load_b32 v36, v28
	global_wb scope:SCOPE_SE
	s_wait_loadcnt_dscnt 0x0
	s_barrier_signal -1
	s_barrier_wait -1
	global_inv scope:SCOPE_SE
	v_lshrrev_b32_e32 v37, 16, v21
	v_lshrrev_b32_e32 v38, 16, v22
	v_lshrrev_b32_e32 v39, 16, v24
	v_lshrrev_b32_e32 v42, 16, v20
	v_lshrrev_b32_e32 v45, 16, v23
	v_lshrrev_b32_e32 v43, 16, v1
	v_lshrrev_b32_e32 v44, 16, v35
	v_lshrrev_b32_e32 v46, 16, v25
	v_lshrrev_b32_e32 v47, 16, v27
	v_lshrrev_b32_e32 v48, 16, v33
	v_lshrrev_b32_e32 v40, 16, v26
	v_lshrrev_b32_e32 v41, 16, v32
	v_lshrrev_b32_e32 v49, 16, v36
	v_lshrrev_b32_e32 v50, 16, v34
	v_lshrrev_b32_e32 v51, 16, v8
	v_lshrrev_b32_e32 v52, 16, v9
	v_lshrrev_b32_e32 v53, 16, v10
	v_lshrrev_b32_e32 v54, 16, v11
	v_lshrrev_b32_e32 v55, 16, v16
	v_lshrrev_b32_e32 v56, 16, v17
	v_lshrrev_b32_e32 v57, 16, v12
	v_lshrrev_b32_e32 v58, 16, v13
	v_lshrrev_b32_e32 v61, 16, v18
	v_lshrrev_b32_e32 v62, 16, v19
	v_lshrrev_b32_e32 v59, 16, v14
	v_lshrrev_b32_e32 v60, 16, v15
	v_mul_f16_e32 v63, v51, v44
	v_mul_f16_e32 v51, v51, v35
	v_mul_f16_e32 v64, v52, v45
	v_mul_f16_e32 v52, v52, v23
	v_mul_f16_e32 v65, v53, v46
	v_mul_f16_e32 v53, v53, v25
	v_mul_f16_e32 v66, v54, v47
	v_mul_f16_e32 v54, v54, v27
	v_mul_f16_e32 v67, v55, v48
	v_mul_f16_e32 v55, v55, v33
	v_mul_f16_e32 v68, v37, v56
	v_mul_f16_e32 v56, v21, v56
	v_mul_f16_e32 v69, v38, v57
	v_mul_f16_e32 v57, v22, v57
	v_mul_f16_e32 v70, v39, v58
	v_mul_f16_e32 v58, v24, v58
	v_mul_f16_e32 v73, v42, v61
	v_mul_f16_e32 v61, v20, v61
	v_mul_f16_e32 v74, v43, v62
	v_mul_f16_e32 v62, v1, v62
	v_mul_f16_e32 v71, v40, v59
	v_mul_f16_e32 v59, v26, v59
	v_mul_f16_e32 v72, v41, v60
	v_mul_f16_e32 v60, v32, v60
	v_fmac_f16_e32 v63, v8, v35
	v_fma_f16 v8, v8, v44, -v51
	v_fmac_f16_e32 v64, v9, v23
	v_fma_f16 v9, v9, v45, -v52
	;; [unrolled: 2-line block ×12, first 2 shown]
	v_add_f16_e32 v19, v63, v68
	v_add_f16_e32 v20, v8, v17
	v_sub_f16_e32 v8, v8, v17
	v_add_f16_e32 v17, v64, v67
	v_add_f16_e32 v22, v9, v16
	v_sub_f16_e32 v23, v64, v67
	v_sub_f16_e32 v9, v9, v16
	v_add_f16_e32 v16, v65, v66
	v_add_f16_e32 v24, v10, v11
	v_sub_f16_e32 v25, v66, v65
	;; [unrolled: 4-line block ×3, first 2 shown]
	v_add_f16_e32 v12, v70, v73
	v_add_f16_e32 v32, v13, v18
	v_sub_f16_e32 v21, v63, v68
	v_sub_f16_e32 v27, v69, v74
	v_sub_f16_e32 v33, v70, v73
	v_sub_f16_e32 v13, v13, v18
	v_add_f16_e32 v18, v71, v72
	v_add_f16_e32 v35, v14, v15
	v_sub_f16_e32 v37, v72, v71
	v_sub_f16_e32 v14, v15, v14
	v_add_f16_e32 v15, v17, v19
	v_add_f16_e32 v38, v22, v20
	v_sub_f16_e32 v39, v17, v19
	v_sub_f16_e32 v40, v22, v20
	;; [unrolled: 1-line block ×6, first 2 shown]
	v_add_f16_e32 v41, v25, v23
	v_add_f16_e32 v42, v10, v9
	v_sub_f16_e32 v43, v25, v23
	v_sub_f16_e32 v44, v10, v9
	v_sub_f16_e32 v9, v9, v8
	v_add_f16_e32 v45, v12, v11
	v_add_f16_e32 v46, v32, v26
	v_sub_f16_e32 v25, v21, v25
	v_sub_f16_e32 v10, v8, v10
	;; [unrolled: 1-line block ×9, first 2 shown]
	v_add_f16_e32 v51, v37, v33
	v_add_f16_e32 v52, v14, v13
	v_sub_f16_e32 v53, v37, v33
	v_sub_f16_e32 v54, v14, v13
	;; [unrolled: 1-line block ×4, first 2 shown]
	v_add_f16_e32 v15, v16, v15
	v_add_f16_e32 v16, v24, v38
	;; [unrolled: 1-line block ×4, first 2 shown]
	v_mul_f16_e32 v19, 0x3a52, v19
	v_mul_f16_e32 v20, 0x3a52, v20
	;; [unrolled: 1-line block ×7, first 2 shown]
	v_add_f16_e32 v18, v18, v45
	v_add_f16_e32 v35, v35, v46
	v_sub_f16_e32 v37, v27, v37
	v_sub_f16_e32 v14, v1, v14
	v_mul_f16_e32 v43, 0xbb00, v23
	v_add_f16_e32 v27, v51, v27
	v_add_f16_e32 v1, v52, v1
	v_mul_f16_e32 v11, 0x3a52, v11
	v_mul_f16_e32 v26, 0x3a52, v26
	;; [unrolled: 1-line block ×7, first 2 shown]
	v_add_f16_e32 v36, v15, v36
	v_add_f16_e32 v49, v16, v49
	v_fmamk_f16 v17, v17, 0x2b26, v19
	v_fmamk_f16 v22, v22, 0x2b26, v20
	v_fma_f16 v24, v39, 0x39e0, -v24
	v_fma_f16 v38, v40, 0x39e0, -v38
	;; [unrolled: 1-line block ×4, first 2 shown]
	v_fmamk_f16 v39, v25, 0xb574, v41
	v_fmamk_f16 v40, v10, 0xb574, v42
	v_fma_f16 v23, v23, 0xbb00, -v41
	v_fma_f16 v9, v9, 0xbb00, -v42
	;; [unrolled: 1-line block ×3, first 2 shown]
	v_add_f16_e32 v34, v18, v34
	v_add_f16_e32 v41, v35, v50
	v_mul_f16_e32 v46, 0x2b26, v32
	v_fma_f16 v25, v25, 0x3574, -v43
	v_fmamk_f16 v12, v12, 0x2b26, v11
	v_fmamk_f16 v32, v32, 0x2b26, v26
	v_fma_f16 v42, v47, 0x39e0, -v45
	v_fmamk_f16 v44, v37, 0xb574, v51
	v_fmamk_f16 v45, v14, 0xb574, v52
	v_fma_f16 v33, v33, 0xbb00, -v51
	v_fma_f16 v13, v13, 0xbb00, -v52
	;; [unrolled: 1-line block ×4, first 2 shown]
	v_fmamk_f16 v15, v15, 0xbcab, v36
	v_fmamk_f16 v16, v16, 0xbcab, v49
	v_fmac_f16_e32 v40, 0xb70e, v8
	v_fmac_f16_e32 v9, 0xb70e, v8
	;; [unrolled: 1-line block ×3, first 2 shown]
	v_fmamk_f16 v8, v18, 0xbcab, v34
	v_fmamk_f16 v18, v35, 0xbcab, v41
	v_fma_f16 v11, v47, 0xb9e0, -v11
	v_fma_f16 v26, v48, 0xb9e0, -v26
	;; [unrolled: 1-line block ×3, first 2 shown]
	v_fmac_f16_e32 v39, 0xb70e, v21
	v_fmac_f16_e32 v23, 0xb70e, v21
	;; [unrolled: 1-line block ×9, first 2 shown]
	v_pack_b32_f16 v1, v36, v49
	v_pack_b32_f16 v21, v34, v41
	v_add_f16_e32 v17, v17, v15
	v_add_f16_e32 v22, v22, v16
	;; [unrolled: 1-line block ×12, first 2 shown]
	ds_store_2addr_b32 v31, v1, v21 offset1:13
	v_add_f16_e32 v1, v40, v17
	v_sub_f16_e32 v18, v22, v39
	v_add_f16_e32 v21, v10, v15
	v_sub_f16_e32 v26, v16, v25
	v_sub_f16_e32 v34, v24, v9
	v_add_f16_e32 v9, v9, v24
	v_sub_f16_e32 v10, v15, v10
	v_add_f16_e32 v15, v25, v16
	;; [unrolled: 2-line block ×3, first 2 shown]
	v_add_f16_e32 v22, v45, v12
	v_sub_f16_e32 v24, v19, v44
	v_add_f16_e32 v35, v23, v27
	v_sub_f16_e32 v23, v27, v23
	;; [unrolled: 2-line block ×3, first 2 shown]
	v_sub_f16_e32 v36, v20, v13
	v_add_f16_e32 v38, v33, v32
	v_add_f16_e32 v13, v13, v20
	v_sub_f16_e32 v20, v32, v33
	v_sub_f16_e32 v8, v8, v14
	v_add_f16_e32 v11, v37, v11
	v_sub_f16_e32 v12, v12, v45
	v_add_f16_e32 v14, v44, v19
	v_pack_b32_f16 v1, v1, v18
	v_pack_b32_f16 v10, v10, v15
	;; [unrolled: 1-line block ×12, first 2 shown]
	ds_store_2addr_b32 v31, v1, v16 offset0:26 offset1:39
	ds_store_2addr_b32 v31, v18, v17 offset0:52 offset1:65
	;; [unrolled: 1-line block ×6, first 2 shown]
	global_wb scope:SCOPE_SE
	s_wait_dscnt 0x0
	s_barrier_signal -1
	s_barrier_wait -1
	global_inv scope:SCOPE_SE
	ds_load_b32 v11, v28
	v_sub_nc_u32_e32 v1, v30, v29
                                        ; implicit-def: $vgpr9
                                        ; implicit-def: $vgpr8
                                        ; implicit-def: $vgpr10
	s_and_saveexec_b32 s1, s0
	s_wait_alu 0xfffe
	s_xor_b32 s0, exec_lo, s1
	s_cbranch_execz .LBB0_15
; %bb.14:
	global_load_b32 v6, v[6:7], off offset:676
	ds_load_b32 v7, v1 offset:728
                                        ; implicit-def: $vgpr30
	s_wait_dscnt 0x0
	v_pk_add_f16 v8, v11, v7 neg_lo:[0,1] neg_hi:[0,1]
	v_pk_add_f16 v7, v7, v11
	s_delay_alu instid0(VALU_DEP_1) | instskip(SKIP_1) | instid1(VALU_DEP_2)
	v_bfi_b32 v9, 0xffff, v8, v7
	v_bfi_b32 v7, 0xffff, v7, v8
	v_pk_mul_f16 v9, v9, 0.5 op_sel_hi:[1,0]
	s_delay_alu instid0(VALU_DEP_2) | instskip(SKIP_1) | instid1(VALU_DEP_2)
	v_pk_mul_f16 v10, v7, 0.5 op_sel_hi:[1,0]
	s_wait_loadcnt 0x0
	v_pk_mul_f16 v8, v6, v9 op_sel:[1,0]
	v_pk_mul_f16 v6, v6, v9 op_sel_hi:[0,1]
	s_delay_alu instid0(VALU_DEP_3) | instskip(NEXT) | instid1(VALU_DEP_3)
	v_lshrrev_b32_e32 v9, 16, v10
	v_pk_fma_f16 v7, v7, 0.5, v8 op_sel_hi:[1,0,1]
	v_lshrrev_b32_e32 v11, 16, v8
	v_sub_f16_e32 v8, v10, v8
	v_lshrrev_b32_e32 v10, 16, v6
	s_delay_alu instid0(VALU_DEP_4) | instskip(SKIP_2) | instid1(VALU_DEP_4)
	v_pk_add_f16 v12, v7, v6 op_sel:[0,1] op_sel_hi:[1,0]
	v_pk_add_f16 v7, v7, v6 op_sel:[0,1] op_sel_hi:[1,0] neg_lo:[0,1] neg_hi:[0,1]
	v_sub_f16_e32 v11, v11, v9
	v_sub_f16_e32 v8, v8, v10
	s_delay_alu instid0(VALU_DEP_3) | instskip(NEXT) | instid1(VALU_DEP_3)
	v_bfi_b32 v9, 0xffff, v12, v7
	v_sub_f16_e32 v10, v11, v6
                                        ; implicit-def: $vgpr11
.LBB0_15:
	s_wait_alu 0xfffe
	s_and_not1_saveexec_b32 s0, s0
	s_cbranch_execz .LBB0_17
; %bb.16:
	ds_load_u16 v6, v30 offset:366
	s_wait_dscnt 0x1
	s_wait_alu 0xfffe
	v_alignbit_b32 v7, s0, v11, 16
	v_lshrrev_b32_e32 v8, 16, v11
	v_mov_b32_e32 v10, 0
	s_delay_alu instid0(VALU_DEP_3) | instskip(NEXT) | instid1(VALU_DEP_3)
	v_pk_add_f16 v7, v7, v11
	v_sub_f16_e32 v8, v11, v8
	s_delay_alu instid0(VALU_DEP_2)
	v_pack_b32_f16 v9, v7, 0
	s_wait_dscnt 0x0
	v_xor_b32_e32 v6, 0x8000, v6
	ds_store_b16 v30, v6 offset:366
.LBB0_17:
	s_wait_alu 0xfffe
	s_or_b32 exec_lo, exec_lo, s0
	s_add_nc_u64 s[0:1], s[4:5], 0x2a4
	s_wait_alu 0xfffe
	v_add_co_u32 v6, s0, s0, v4
	s_wait_alu 0xf1ff
	v_add_co_ci_u32_e64 v7, s0, s1, v5, s0
	s_wait_dscnt 0x0
	s_clause 0x4
	global_load_b32 v11, v[6:7], off offset:52
	global_load_b32 v12, v[6:7], off offset:104
	;; [unrolled: 1-line block ×5, first 2 shown]
	ds_store_b16 v1, v10 offset:730
	ds_store_b32 v28, v9
	ds_store_b16 v1, v8 offset:728
	ds_load_b32 v8, v28 offset:52
	ds_load_b32 v9, v1 offset:676
	global_load_b32 v6, v[6:7], off offset:312
	s_wait_dscnt 0x0
	v_pk_add_f16 v7, v8, v9 neg_lo:[0,1] neg_hi:[0,1]
	v_pk_add_f16 v8, v8, v9
	s_delay_alu instid0(VALU_DEP_1) | instskip(SKIP_1) | instid1(VALU_DEP_2)
	v_bfi_b32 v9, 0xffff, v7, v8
	v_bfi_b32 v7, 0xffff, v8, v7
	v_pk_mul_f16 v8, v9, 0.5 op_sel_hi:[1,0]
	s_delay_alu instid0(VALU_DEP_2) | instskip(NEXT) | instid1(VALU_DEP_1)
	v_pk_mul_f16 v9, v7, 0.5 op_sel_hi:[1,0]
	v_lshrrev_b32_e32 v16, 16, v9
	s_wait_loadcnt 0x5
	s_delay_alu instid0(VALU_DEP_3) | instskip(SKIP_1) | instid1(VALU_DEP_2)
	v_pk_mul_f16 v10, v11, v8 op_sel:[1,0]
	v_pk_mul_f16 v8, v11, v8 op_sel_hi:[0,1]
	v_lshrrev_b32_e32 v11, 16, v10
	v_pk_fma_f16 v7, v7, 0.5, v10 op_sel_hi:[1,0,1]
	v_sub_f16_e32 v9, v9, v10
	s_delay_alu instid0(VALU_DEP_3) | instskip(NEXT) | instid1(VALU_DEP_3)
	v_sub_f16_e32 v11, v11, v16
	v_pk_add_f16 v10, v7, v8 op_sel:[0,1] op_sel_hi:[1,0]
	v_pk_add_f16 v7, v7, v8 op_sel:[0,1] op_sel_hi:[1,0] neg_lo:[0,1] neg_hi:[0,1]
	v_lshrrev_b32_e32 v16, 16, v8
	s_delay_alu instid0(VALU_DEP_4) | instskip(NEXT) | instid1(VALU_DEP_3)
	v_sub_f16_e32 v8, v11, v8
	v_bfi_b32 v7, 0xffff, v10, v7
	s_delay_alu instid0(VALU_DEP_3)
	v_sub_f16_e32 v9, v9, v16
	ds_store_b16 v1, v8 offset:678
	ds_store_b32 v28, v7 offset:52
	ds_store_b16 v1, v9 offset:676
	ds_load_b32 v7, v28 offset:104
	ds_load_b32 v8, v1 offset:624
	s_wait_dscnt 0x0
	v_pk_add_f16 v9, v7, v8 neg_lo:[0,1] neg_hi:[0,1]
	v_pk_add_f16 v7, v7, v8
	s_delay_alu instid0(VALU_DEP_1) | instskip(SKIP_1) | instid1(VALU_DEP_2)
	v_bfi_b32 v8, 0xffff, v9, v7
	v_bfi_b32 v7, 0xffff, v7, v9
	v_pk_mul_f16 v8, v8, 0.5 op_sel_hi:[1,0]
	s_delay_alu instid0(VALU_DEP_2) | instskip(SKIP_1) | instid1(VALU_DEP_2)
	v_pk_mul_f16 v9, v7, 0.5 op_sel_hi:[1,0]
	s_wait_loadcnt 0x4
	v_pk_mul_f16 v10, v12, v8 op_sel:[1,0]
	v_pk_mul_f16 v8, v12, v8 op_sel_hi:[0,1]
	s_delay_alu instid0(VALU_DEP_3) | instskip(NEXT) | instid1(VALU_DEP_3)
	v_lshrrev_b32_e32 v11, 16, v9
	v_lshrrev_b32_e32 v12, 16, v10
	v_pk_fma_f16 v7, v7, 0.5, v10 op_sel_hi:[1,0,1]
	v_sub_f16_e32 v9, v9, v10
	s_delay_alu instid0(VALU_DEP_3) | instskip(NEXT) | instid1(VALU_DEP_3)
	v_sub_f16_e32 v11, v12, v11
	v_pk_add_f16 v10, v7, v8 op_sel:[0,1] op_sel_hi:[1,0]
	v_pk_add_f16 v7, v7, v8 op_sel:[0,1] op_sel_hi:[1,0] neg_lo:[0,1] neg_hi:[0,1]
	v_lshrrev_b32_e32 v12, 16, v8
	s_delay_alu instid0(VALU_DEP_4) | instskip(NEXT) | instid1(VALU_DEP_3)
	v_sub_f16_e32 v8, v11, v8
	v_bfi_b32 v7, 0xffff, v10, v7
	s_delay_alu instid0(VALU_DEP_3)
	v_sub_f16_e32 v9, v9, v12
	ds_store_b16 v1, v8 offset:626
	ds_store_b32 v28, v7 offset:104
	ds_store_b16 v1, v9 offset:624
	ds_load_b32 v7, v28 offset:156
	ds_load_b32 v8, v1 offset:572
	s_wait_dscnt 0x0
	v_pk_add_f16 v9, v7, v8 neg_lo:[0,1] neg_hi:[0,1]
	v_pk_add_f16 v7, v7, v8
	s_delay_alu instid0(VALU_DEP_1) | instskip(SKIP_1) | instid1(VALU_DEP_2)
	v_bfi_b32 v8, 0xffff, v9, v7
	v_bfi_b32 v7, 0xffff, v7, v9
	v_pk_mul_f16 v8, v8, 0.5 op_sel_hi:[1,0]
	s_delay_alu instid0(VALU_DEP_2) | instskip(SKIP_1) | instid1(VALU_DEP_2)
	v_pk_mul_f16 v9, v7, 0.5 op_sel_hi:[1,0]
	s_wait_loadcnt 0x3
	v_pk_mul_f16 v10, v13, v8 op_sel:[1,0]
	s_delay_alu instid0(VALU_DEP_2) | instskip(SKIP_1) | instid1(VALU_DEP_3)
	v_lshrrev_b32_e32 v11, 16, v9
	v_pk_mul_f16 v8, v13, v8 op_sel_hi:[0,1]
	v_lshrrev_b32_e32 v12, 16, v10
	v_pk_fma_f16 v7, v7, 0.5, v10 op_sel_hi:[1,0,1]
	v_sub_f16_e32 v9, v9, v10
	s_delay_alu instid0(VALU_DEP_3) | instskip(NEXT) | instid1(VALU_DEP_3)
	v_sub_f16_e32 v11, v12, v11
	v_pk_add_f16 v10, v7, v8 op_sel:[0,1] op_sel_hi:[1,0]
	v_pk_add_f16 v7, v7, v8 op_sel:[0,1] op_sel_hi:[1,0] neg_lo:[0,1] neg_hi:[0,1]
	v_lshrrev_b32_e32 v12, 16, v8
	s_delay_alu instid0(VALU_DEP_4) | instskip(NEXT) | instid1(VALU_DEP_3)
	v_sub_f16_e32 v8, v11, v8
	v_bfi_b32 v7, 0xffff, v10, v7
	s_delay_alu instid0(VALU_DEP_3)
	v_sub_f16_e32 v9, v9, v12
	ds_store_b16 v1, v8 offset:574
	ds_store_b32 v28, v7 offset:156
	ds_store_b16 v1, v9 offset:572
	ds_load_b32 v7, v28 offset:208
	ds_load_b32 v8, v1 offset:520
	s_wait_dscnt 0x0
	v_pk_add_f16 v9, v7, v8 neg_lo:[0,1] neg_hi:[0,1]
	v_pk_add_f16 v7, v7, v8
	s_delay_alu instid0(VALU_DEP_1) | instskip(SKIP_1) | instid1(VALU_DEP_2)
	v_bfi_b32 v8, 0xffff, v9, v7
	v_bfi_b32 v7, 0xffff, v7, v9
	v_pk_mul_f16 v8, v8, 0.5 op_sel_hi:[1,0]
	s_delay_alu instid0(VALU_DEP_2) | instskip(SKIP_1) | instid1(VALU_DEP_2)
	v_pk_mul_f16 v7, v7, 0.5 op_sel_hi:[1,0]
	s_wait_loadcnt 0x2
	v_pk_mul_f16 v10, v14, v8 op_sel_hi:[0,1]
	s_delay_alu instid0(VALU_DEP_2) | instskip(SKIP_2) | instid1(VALU_DEP_3)
	v_pk_fma_f16 v9, v14, v8, v7 op_sel:[1,0,0]
	v_pk_fma_f16 v11, v14, v8, v7 op_sel:[1,0,0] neg_lo:[1,0,0] neg_hi:[1,0,0]
	v_pk_fma_f16 v7, v14, v8, v7 op_sel:[1,0,0] neg_lo:[0,0,1] neg_hi:[0,0,1]
	v_pk_add_f16 v8, v9, v10 op_sel:[0,1] op_sel_hi:[1,0]
	v_pk_add_f16 v9, v9, v10 op_sel:[0,1] op_sel_hi:[1,0] neg_lo:[0,1] neg_hi:[0,1]
	s_delay_alu instid0(VALU_DEP_4) | instskip(NEXT) | instid1(VALU_DEP_4)
	v_pk_add_f16 v11, v11, v10 op_sel:[0,1] op_sel_hi:[1,0] neg_lo:[0,1] neg_hi:[0,1]
	v_pk_add_f16 v7, v7, v10 op_sel:[0,1] op_sel_hi:[1,0] neg_lo:[0,1] neg_hi:[0,1]
	s_delay_alu instid0(VALU_DEP_3) | instskip(NEXT) | instid1(VALU_DEP_2)
	v_bfi_b32 v8, 0xffff, v8, v9
	v_bfi_b32 v7, 0xffff, v11, v7
	ds_store_b32 v28, v8 offset:208
	ds_store_b32 v1, v7 offset:520
	ds_load_b32 v7, v28 offset:260
	ds_load_b32 v8, v1 offset:468
	s_wait_dscnt 0x0
	v_pk_add_f16 v9, v7, v8 neg_lo:[0,1] neg_hi:[0,1]
	v_pk_add_f16 v7, v7, v8
	s_delay_alu instid0(VALU_DEP_1) | instskip(SKIP_1) | instid1(VALU_DEP_2)
	v_bfi_b32 v8, 0xffff, v9, v7
	v_bfi_b32 v7, 0xffff, v7, v9
	v_pk_mul_f16 v8, v8, 0.5 op_sel_hi:[1,0]
	s_delay_alu instid0(VALU_DEP_2) | instskip(SKIP_1) | instid1(VALU_DEP_2)
	v_pk_mul_f16 v9, v7, 0.5 op_sel_hi:[1,0]
	s_wait_loadcnt 0x1
	v_pk_mul_f16 v10, v15, v8 op_sel:[1,0]
	s_delay_alu instid0(VALU_DEP_2) | instskip(SKIP_1) | instid1(VALU_DEP_3)
	v_lshrrev_b32_e32 v11, 16, v9
	v_pk_mul_f16 v8, v15, v8 op_sel_hi:[0,1]
	v_lshrrev_b32_e32 v12, 16, v10
	v_pk_fma_f16 v7, v7, 0.5, v10 op_sel_hi:[1,0,1]
	v_sub_f16_e32 v9, v9, v10
	s_delay_alu instid0(VALU_DEP_3) | instskip(NEXT) | instid1(VALU_DEP_3)
	v_sub_f16_e32 v11, v12, v11
	v_pk_add_f16 v10, v7, v8 op_sel:[0,1] op_sel_hi:[1,0]
	v_pk_add_f16 v7, v7, v8 op_sel:[0,1] op_sel_hi:[1,0] neg_lo:[0,1] neg_hi:[0,1]
	v_lshrrev_b32_e32 v12, 16, v8
	s_delay_alu instid0(VALU_DEP_4) | instskip(NEXT) | instid1(VALU_DEP_3)
	v_sub_f16_e32 v8, v11, v8
	v_bfi_b32 v7, 0xffff, v10, v7
	s_delay_alu instid0(VALU_DEP_3)
	v_sub_f16_e32 v9, v9, v12
	ds_store_b16 v1, v8 offset:470
	ds_store_b32 v28, v7 offset:260
	ds_store_b16 v1, v9 offset:468
	ds_load_b32 v7, v28 offset:312
	ds_load_b32 v8, v1 offset:416
	s_wait_dscnt 0x0
	v_pk_add_f16 v9, v7, v8 neg_lo:[0,1] neg_hi:[0,1]
	v_pk_add_f16 v7, v7, v8
	s_delay_alu instid0(VALU_DEP_1) | instskip(SKIP_1) | instid1(VALU_DEP_2)
	v_bfi_b32 v8, 0xffff, v9, v7
	v_bfi_b32 v7, 0xffff, v7, v9
	v_pk_mul_f16 v8, v8, 0.5 op_sel_hi:[1,0]
	s_delay_alu instid0(VALU_DEP_2) | instskip(SKIP_1) | instid1(VALU_DEP_2)
	v_pk_mul_f16 v7, v7, 0.5 op_sel_hi:[1,0]
	s_wait_loadcnt 0x0
	v_pk_mul_f16 v10, v6, v8 op_sel_hi:[0,1]
	s_delay_alu instid0(VALU_DEP_2) | instskip(SKIP_2) | instid1(VALU_DEP_3)
	v_pk_fma_f16 v9, v6, v8, v7 op_sel:[1,0,0]
	v_pk_fma_f16 v11, v6, v8, v7 op_sel:[1,0,0] neg_lo:[1,0,0] neg_hi:[1,0,0]
	v_pk_fma_f16 v6, v6, v8, v7 op_sel:[1,0,0] neg_lo:[0,0,1] neg_hi:[0,0,1]
	v_pk_add_f16 v7, v9, v10 op_sel:[0,1] op_sel_hi:[1,0]
	v_pk_add_f16 v8, v9, v10 op_sel:[0,1] op_sel_hi:[1,0] neg_lo:[0,1] neg_hi:[0,1]
	s_delay_alu instid0(VALU_DEP_4) | instskip(NEXT) | instid1(VALU_DEP_4)
	v_pk_add_f16 v9, v11, v10 op_sel:[0,1] op_sel_hi:[1,0] neg_lo:[0,1] neg_hi:[0,1]
	v_pk_add_f16 v6, v6, v10 op_sel:[0,1] op_sel_hi:[1,0] neg_lo:[0,1] neg_hi:[0,1]
	s_delay_alu instid0(VALU_DEP_3) | instskip(NEXT) | instid1(VALU_DEP_2)
	v_bfi_b32 v7, 0xffff, v7, v8
	v_bfi_b32 v6, 0xffff, v9, v6
	ds_store_b32 v28, v7 offset:312
	ds_store_b32 v1, v6 offset:416
	global_wb scope:SCOPE_SE
	s_wait_dscnt 0x0
	s_barrier_signal -1
	s_barrier_wait -1
	global_inv scope:SCOPE_SE
	s_and_saveexec_b32 s0, vcc_lo
	s_cbranch_execz .LBB0_20
; %bb.18:
	ds_load_2addr_b32 v[6:7], v28 offset1:13
	ds_load_2addr_b32 v[8:9], v28 offset0:26 offset1:39
	ds_load_2addr_b32 v[10:11], v28 offset0:52 offset1:65
	ds_load_2addr_b32 v[12:13], v28 offset0:78 offset1:91
	ds_load_2addr_b32 v[14:15], v28 offset0:104 offset1:117
	ds_load_2addr_b32 v[16:17], v28 offset0:130 offset1:143
	ds_load_2addr_b32 v[18:19], v28 offset0:156 offset1:169
	v_add_co_u32 v1, vcc_lo, s8, v2
	s_wait_alu 0xfffd
	v_add_co_ci_u32_e32 v2, vcc_lo, s9, v3, vcc_lo
	s_delay_alu instid0(VALU_DEP_2) | instskip(SKIP_1) | instid1(VALU_DEP_2)
	v_add_co_u32 v3, vcc_lo, v1, v4
	s_wait_alu 0xfffd
	v_add_co_ci_u32_e32 v4, vcc_lo, v2, v5, vcc_lo
	v_cmp_eq_u32_e32 vcc_lo, 12, v0
	s_wait_dscnt 0x6
	s_clause 0x1
	global_store_b32 v[3:4], v6, off
	global_store_b32 v[3:4], v7, off offset:52
	s_wait_dscnt 0x5
	s_clause 0x1
	global_store_b32 v[3:4], v8, off offset:104
	global_store_b32 v[3:4], v9, off offset:156
	s_wait_dscnt 0x4
	s_clause 0x1
	global_store_b32 v[3:4], v10, off offset:208
	;; [unrolled: 4-line block ×6, first 2 shown]
	global_store_b32 v[3:4], v19, off offset:676
	s_and_b32 exec_lo, exec_lo, vcc_lo
	s_cbranch_execz .LBB0_20
; %bb.19:
	ds_load_b32 v0, v28 offset:680
	s_wait_dscnt 0x0
	global_store_b32 v[1:2], v0, off offset:728
.LBB0_20:
	s_nop 0
	s_sendmsg sendmsg(MSG_DEALLOC_VGPRS)
	s_endpgm
	.section	.rodata,"a",@progbits
	.p2align	6, 0x0
	.amdhsa_kernel fft_rtc_back_len182_factors_13_2_7_wgs_52_tpt_13_half_ip_CI_unitstride_sbrr_R2C_dirReg
		.amdhsa_group_segment_fixed_size 0
		.amdhsa_private_segment_fixed_size 0
		.amdhsa_kernarg_size 88
		.amdhsa_user_sgpr_count 2
		.amdhsa_user_sgpr_dispatch_ptr 0
		.amdhsa_user_sgpr_queue_ptr 0
		.amdhsa_user_sgpr_kernarg_segment_ptr 1
		.amdhsa_user_sgpr_dispatch_id 0
		.amdhsa_user_sgpr_private_segment_size 0
		.amdhsa_wavefront_size32 1
		.amdhsa_uses_dynamic_stack 0
		.amdhsa_enable_private_segment 0
		.amdhsa_system_sgpr_workgroup_id_x 1
		.amdhsa_system_sgpr_workgroup_id_y 0
		.amdhsa_system_sgpr_workgroup_id_z 0
		.amdhsa_system_sgpr_workgroup_info 0
		.amdhsa_system_vgpr_workitem_id 0
		.amdhsa_next_free_vgpr 95
		.amdhsa_next_free_sgpr 32
		.amdhsa_reserve_vcc 1
		.amdhsa_float_round_mode_32 0
		.amdhsa_float_round_mode_16_64 0
		.amdhsa_float_denorm_mode_32 3
		.amdhsa_float_denorm_mode_16_64 3
		.amdhsa_fp16_overflow 0
		.amdhsa_workgroup_processor_mode 1
		.amdhsa_memory_ordered 1
		.amdhsa_forward_progress 0
		.amdhsa_round_robin_scheduling 0
		.amdhsa_exception_fp_ieee_invalid_op 0
		.amdhsa_exception_fp_denorm_src 0
		.amdhsa_exception_fp_ieee_div_zero 0
		.amdhsa_exception_fp_ieee_overflow 0
		.amdhsa_exception_fp_ieee_underflow 0
		.amdhsa_exception_fp_ieee_inexact 0
		.amdhsa_exception_int_div_zero 0
	.end_amdhsa_kernel
	.text
.Lfunc_end0:
	.size	fft_rtc_back_len182_factors_13_2_7_wgs_52_tpt_13_half_ip_CI_unitstride_sbrr_R2C_dirReg, .Lfunc_end0-fft_rtc_back_len182_factors_13_2_7_wgs_52_tpt_13_half_ip_CI_unitstride_sbrr_R2C_dirReg
                                        ; -- End function
	.section	.AMDGPU.csdata,"",@progbits
; Kernel info:
; codeLenInByte = 12456
; NumSgprs: 34
; NumVgprs: 95
; ScratchSize: 0
; MemoryBound: 0
; FloatMode: 240
; IeeeMode: 1
; LDSByteSize: 0 bytes/workgroup (compile time only)
; SGPRBlocks: 4
; VGPRBlocks: 11
; NumSGPRsForWavesPerEU: 34
; NumVGPRsForWavesPerEU: 95
; Occupancy: 16
; WaveLimiterHint : 1
; COMPUTE_PGM_RSRC2:SCRATCH_EN: 0
; COMPUTE_PGM_RSRC2:USER_SGPR: 2
; COMPUTE_PGM_RSRC2:TRAP_HANDLER: 0
; COMPUTE_PGM_RSRC2:TGID_X_EN: 1
; COMPUTE_PGM_RSRC2:TGID_Y_EN: 0
; COMPUTE_PGM_RSRC2:TGID_Z_EN: 0
; COMPUTE_PGM_RSRC2:TIDIG_COMP_CNT: 0
	.text
	.p2alignl 7, 3214868480
	.fill 96, 4, 3214868480
	.type	__hip_cuid_6e6659e7bace4af9,@object ; @__hip_cuid_6e6659e7bace4af9
	.section	.bss,"aw",@nobits
	.globl	__hip_cuid_6e6659e7bace4af9
__hip_cuid_6e6659e7bace4af9:
	.byte	0                               ; 0x0
	.size	__hip_cuid_6e6659e7bace4af9, 1

	.ident	"AMD clang version 19.0.0git (https://github.com/RadeonOpenCompute/llvm-project roc-6.4.0 25133 c7fe45cf4b819c5991fe208aaa96edf142730f1d)"
	.section	".note.GNU-stack","",@progbits
	.addrsig
	.addrsig_sym __hip_cuid_6e6659e7bace4af9
	.amdgpu_metadata
---
amdhsa.kernels:
  - .args:
      - .actual_access:  read_only
        .address_space:  global
        .offset:         0
        .size:           8
        .value_kind:     global_buffer
      - .offset:         8
        .size:           8
        .value_kind:     by_value
      - .actual_access:  read_only
        .address_space:  global
        .offset:         16
        .size:           8
        .value_kind:     global_buffer
      - .actual_access:  read_only
        .address_space:  global
        .offset:         24
        .size:           8
        .value_kind:     global_buffer
      - .offset:         32
        .size:           8
        .value_kind:     by_value
      - .actual_access:  read_only
        .address_space:  global
        .offset:         40
        .size:           8
        .value_kind:     global_buffer
      - .actual_access:  read_only
        .address_space:  global
        .offset:         48
        .size:           8
        .value_kind:     global_buffer
      - .offset:         56
        .size:           4
        .value_kind:     by_value
      - .actual_access:  read_only
        .address_space:  global
        .offset:         64
        .size:           8
        .value_kind:     global_buffer
      - .actual_access:  read_only
        .address_space:  global
        .offset:         72
        .size:           8
        .value_kind:     global_buffer
      - .address_space:  global
        .offset:         80
        .size:           8
        .value_kind:     global_buffer
    .group_segment_fixed_size: 0
    .kernarg_segment_align: 8
    .kernarg_segment_size: 88
    .language:       OpenCL C
    .language_version:
      - 2
      - 0
    .max_flat_workgroup_size: 52
    .name:           fft_rtc_back_len182_factors_13_2_7_wgs_52_tpt_13_half_ip_CI_unitstride_sbrr_R2C_dirReg
    .private_segment_fixed_size: 0
    .sgpr_count:     34
    .sgpr_spill_count: 0
    .symbol:         fft_rtc_back_len182_factors_13_2_7_wgs_52_tpt_13_half_ip_CI_unitstride_sbrr_R2C_dirReg.kd
    .uniform_work_group_size: 1
    .uses_dynamic_stack: false
    .vgpr_count:     95
    .vgpr_spill_count: 0
    .wavefront_size: 32
    .workgroup_processor_mode: 1
amdhsa.target:   amdgcn-amd-amdhsa--gfx1201
amdhsa.version:
  - 1
  - 2
...

	.end_amdgpu_metadata
